;; amdgpu-corpus repo=ROCm/rocFFT kind=compiled arch=gfx1100 opt=O3
	.text
	.amdgcn_target "amdgcn-amd-amdhsa--gfx1100"
	.amdhsa_code_object_version 6
	.protected	bluestein_single_back_len1190_dim1_dp_op_CI_CI ; -- Begin function bluestein_single_back_len1190_dim1_dp_op_CI_CI
	.globl	bluestein_single_back_len1190_dim1_dp_op_CI_CI
	.p2align	8
	.type	bluestein_single_back_len1190_dim1_dp_op_CI_CI,@function
bluestein_single_back_len1190_dim1_dp_op_CI_CI: ; @bluestein_single_back_len1190_dim1_dp_op_CI_CI
; %bb.0:
	s_load_b128 s[4:7], s[0:1], 0x28
	v_mul_u32_u24_e32 v1, 0x304, v0
	s_mov_b32 s2, exec_lo
	s_delay_alu instid0(VALU_DEP_1) | instskip(NEXT) | instid1(VALU_DEP_1)
	v_lshrrev_b32_e32 v1, 16, v1
	v_mad_u64_u32 v[196:197], null, s15, 3, v[1:2]
	v_mov_b32_e32 v197, 0
                                        ; kill: def $vgpr2 killed $sgpr0 killed $exec
	s_waitcnt lgkmcnt(0)
	s_delay_alu instid0(VALU_DEP_1)
	v_cmpx_gt_u64_e64 s[4:5], v[196:197]
	s_cbranch_execz .LBB0_23
; %bb.1:
	v_mul_hi_u32 v2, 0xaaaaaaab, v196
	s_clause 0x1
	s_load_b64 s[12:13], s[0:1], 0x0
	s_load_b64 s[14:15], s[0:1], 0x38
	v_mul_lo_u16 v1, 0x55, v1
	s_delay_alu instid0(VALU_DEP_1) | instskip(NEXT) | instid1(VALU_DEP_3)
	v_sub_nc_u16 v0, v0, v1
	v_lshrrev_b32_e32 v2, 1, v2
	s_delay_alu instid0(VALU_DEP_2) | instskip(NEXT) | instid1(VALU_DEP_2)
	v_and_b32_e32 v245, 0xffff, v0
	v_lshl_add_u32 v2, v2, 1, v2
	v_cmp_gt_u16_e32 vcc_lo, 0x46, v0
	s_delay_alu instid0(VALU_DEP_3) | instskip(NEXT) | instid1(VALU_DEP_3)
	v_lshlrev_b32_e32 v244, 4, v245
	v_sub_nc_u32_e32 v1, v196, v2
	s_delay_alu instid0(VALU_DEP_1) | instskip(NEXT) | instid1(VALU_DEP_1)
	v_mul_u32_u24_e32 v241, 0x4a6, v1
	v_lshlrev_b32_e32 v0, 4, v241
	scratch_store_b32 off, v0, off          ; 4-byte Folded Spill
	s_and_saveexec_b32 s3, vcc_lo
	s_cbranch_execz .LBB0_3
; %bb.2:
	s_load_b64 s[4:5], s[0:1], 0x18
	s_waitcnt lgkmcnt(0)
	v_add_co_u32 v20, s2, s12, v244
	s_delay_alu instid0(VALU_DEP_1) | instskip(NEXT) | instid1(VALU_DEP_2)
	v_add_co_ci_u32_e64 v21, null, s13, 0, s2
	v_add_co_u32 v28, s2, 0x1000, v20
	s_delay_alu instid0(VALU_DEP_1) | instskip(SKIP_1) | instid1(VALU_DEP_1)
	v_add_co_ci_u32_e64 v29, s2, 0, v21, s2
	v_add_co_u32 v42, s2, 0x2000, v20
	v_add_co_ci_u32_e64 v43, s2, 0, v21, s2
	v_add_co_u32 v56, s2, 0x3000, v20
	s_delay_alu instid0(VALU_DEP_1)
	v_add_co_ci_u32_e64 v57, s2, 0, v21, s2
	v_add_co_u32 v128, s2, 0x4000, v20
	s_load_b128 s[8:11], s[4:5], 0x0
	v_add_co_ci_u32_e64 v129, s2, 0, v21, s2
	s_clause 0x3
	global_load_b128 v[0:3], v244, s[12:13]
	global_load_b128 v[4:7], v244, s[12:13] offset:1120
	global_load_b128 v[8:11], v244, s[12:13] offset:2240
	;; [unrolled: 1-line block ×3, first 2 shown]
	s_waitcnt lgkmcnt(0)
	v_mad_u64_u32 v[32:33], null, s10, v196, 0
	v_mad_u64_u32 v[40:41], null, s8, v245, 0
	s_mul_i32 s4, s9, 0x460
	s_mul_hi_u32 s5, s8, 0x460
	s_delay_alu instid0(SALU_CYCLE_1) | instskip(NEXT) | instid1(VALU_DEP_2)
	s_add_i32 s5, s5, s4
	v_mov_b32_e32 v16, v33
	s_delay_alu instid0(VALU_DEP_2) | instskip(NEXT) | instid1(VALU_DEP_1)
	v_mov_b32_e32 v17, v41
	v_mad_u64_u32 v[18:19], null, s11, v196, v[16:17]
	s_delay_alu instid0(VALU_DEP_1)
	v_mov_b32_e32 v33, v18
	v_mad_u64_u32 v[34:35], null, s9, v245, v[17:18]
	s_clause 0x3
	global_load_b128 v[16:19], v[28:29], off offset:384
	global_load_b128 v[20:23], v[28:29], off offset:1504
	;; [unrolled: 1-line block ×4, first 2 shown]
	v_lshlrev_b64 v[44:45], 4, v[32:33]
	v_mov_b32_e32 v41, v34
	s_clause 0x1
	global_load_b128 v[32:35], v[42:43], off offset:768
	global_load_b128 v[36:39], v[42:43], off offset:1888
	v_add_co_u32 v44, s2, s6, v44
	s_delay_alu instid0(VALU_DEP_1) | instskip(SKIP_2) | instid1(VALU_DEP_1)
	v_add_co_ci_u32_e64 v45, s2, s7, v45, s2
	v_lshlrev_b64 v[40:41], 4, v[40:41]
	s_mul_i32 s6, s8, 0x460
	v_add_co_u32 v60, s2, v44, v40
	s_delay_alu instid0(VALU_DEP_1) | instskip(SKIP_2) | instid1(VALU_DEP_1)
	v_add_co_ci_u32_e64 v61, s2, v45, v41, s2
	global_load_b128 v[40:43], v[42:43], off offset:3008
	v_add_co_u32 v64, s2, v60, s6
	v_add_co_ci_u32_e64 v65, s2, s5, v61, s2
	s_clause 0x1
	global_load_b128 v[44:47], v[56:57], off offset:32
	global_load_b128 v[48:51], v[56:57], off offset:1152
	v_add_co_u32 v68, s2, v64, s6
	s_delay_alu instid0(VALU_DEP_1) | instskip(SKIP_4) | instid1(VALU_DEP_1)
	v_add_co_ci_u32_e64 v69, s2, s5, v65, s2
	s_clause 0x1
	global_load_b128 v[52:55], v[56:57], off offset:2272
	global_load_b128 v[56:59], v[56:57], off offset:3392
	v_add_co_u32 v72, s2, v68, s6
	v_add_co_ci_u32_e64 v73, s2, s5, v69, s2
	s_clause 0x1
	global_load_b128 v[60:63], v[60:61], off
	global_load_b128 v[64:67], v[64:65], off
	v_add_co_u32 v76, s2, v72, s6
	s_delay_alu instid0(VALU_DEP_1) | instskip(SKIP_4) | instid1(VALU_DEP_1)
	v_add_co_ci_u32_e64 v77, s2, s5, v73, s2
	s_clause 0x1
	global_load_b128 v[68:71], v[68:69], off
	global_load_b128 v[72:75], v[72:73], off
	v_add_co_u32 v80, s2, v76, s6
	v_add_co_ci_u32_e64 v81, s2, s5, v77, s2
	global_load_b128 v[76:79], v[76:77], off
	v_add_co_u32 v84, s2, v80, s6
	s_delay_alu instid0(VALU_DEP_1) | instskip(SKIP_2) | instid1(VALU_DEP_1)
	v_add_co_ci_u32_e64 v85, s2, s5, v81, s2
	global_load_b128 v[80:83], v[80:81], off
	v_add_co_u32 v88, s2, v84, s6
	v_add_co_ci_u32_e64 v89, s2, s5, v85, s2
	global_load_b128 v[84:87], v[84:85], off
	v_add_co_u32 v92, s2, v88, s6
	s_delay_alu instid0(VALU_DEP_1) | instskip(SKIP_2) | instid1(VALU_DEP_1)
	v_add_co_ci_u32_e64 v93, s2, s5, v89, s2
	;; [unrolled: 7-line block ×5, first 2 shown]
	global_load_b128 v[112:115], v[112:113], off
	v_add_co_u32 v120, s2, v116, s6
	v_add_co_ci_u32_e64 v121, s2, s5, v117, s2
	s_delay_alu instid0(VALU_DEP_2) | instskip(NEXT) | instid1(VALU_DEP_1)
	v_add_co_u32 v132, s2, v120, s6
	v_add_co_ci_u32_e64 v133, s2, s5, v121, s2
	global_load_b128 v[116:119], v[116:117], off
	global_load_b128 v[120:123], v[120:121], off
	s_clause 0x1
	global_load_b128 v[124:127], v[128:129], off offset:416
	global_load_b128 v[128:131], v[128:129], off offset:1536
	global_load_b128 v[132:135], v[132:133], off
	s_waitcnt vmcnt(18)
	v_mul_f64 v[136:137], v[62:63], v[2:3]
	v_mul_f64 v[2:3], v[60:61], v[2:3]
	s_waitcnt vmcnt(17)
	v_mul_f64 v[138:139], v[66:67], v[6:7]
	v_mul_f64 v[6:7], v[64:65], v[6:7]
	;; [unrolled: 3-line block ×17, first 2 shown]
	v_fma_f64 v[58:59], v[60:61], v[0:1], v[136:137]
	v_fma_f64 v[60:61], v[62:63], v[0:1], -v[2:3]
	v_fma_f64 v[0:1], v[64:65], v[4:5], v[138:139]
	v_fma_f64 v[2:3], v[66:67], v[4:5], -v[6:7]
	;; [unrolled: 2-line block ×17, first 2 shown]
	v_lshlrev_b32_e32 v57, 4, v241
	s_delay_alu instid0(VALU_DEP_1)
	v_lshl_add_u32 v56, v245, 4, v57
	v_add_nc_u32_e32 v57, v57, v244
	ds_store_b128 v56, v[58:61]
	ds_store_b128 v57, v[0:3] offset:1120
	ds_store_b128 v57, v[4:7] offset:2240
	;; [unrolled: 1-line block ×16, first 2 shown]
.LBB0_3:
	s_or_b32 exec_lo, exec_lo, s3
	s_clause 0x1
	s_load_b64 s[4:5], s[0:1], 0x20
	s_load_b64 s[2:3], s[0:1], 0x8
	s_waitcnt lgkmcnt(0)
	s_waitcnt_vscnt null, 0x0
	s_barrier
	buffer_gl0_inv
                                        ; implicit-def: $vgpr8_vgpr9
                                        ; implicit-def: $vgpr28_vgpr29
                                        ; implicit-def: $vgpr32_vgpr33
                                        ; implicit-def: $vgpr36_vgpr37
                                        ; implicit-def: $vgpr40_vgpr41
                                        ; implicit-def: $vgpr48_vgpr49
                                        ; implicit-def: $vgpr52_vgpr53
                                        ; implicit-def: $vgpr60_vgpr61
                                        ; implicit-def: $vgpr68_vgpr69
                                        ; implicit-def: $vgpr72_vgpr73
                                        ; implicit-def: $vgpr64_vgpr65
                                        ; implicit-def: $vgpr56_vgpr57
                                        ; implicit-def: $vgpr44_vgpr45
                                        ; implicit-def: $vgpr24_vgpr25
                                        ; implicit-def: $vgpr20_vgpr21
                                        ; implicit-def: $vgpr16_vgpr17
                                        ; implicit-def: $vgpr12_vgpr13
	s_and_saveexec_b32 s0, vcc_lo
	s_cbranch_execz .LBB0_5
; %bb.4:
	v_lshl_add_u32 v0, v241, 4, v244
	ds_load_b128 v[8:11], v0
	ds_load_b128 v[28:31], v0 offset:1120
	ds_load_b128 v[32:35], v0 offset:2240
	;; [unrolled: 1-line block ×16, first 2 shown]
.LBB0_5:
	s_or_b32 exec_lo, exec_lo, s0
	s_waitcnt lgkmcnt(0)
	v_add_f64 v[164:165], v[30:31], -v[14:15]
	s_mov_b32 s0, 0x5d8e7cdc
	s_mov_b32 s1, 0xbfd71e95
	v_add_f64 v[156:157], v[28:29], v[12:13]
	v_add_f64 v[94:95], v[34:35], -v[18:19]
	s_mov_b32 s6, 0x2a9d6da3
	s_mov_b32 s10, 0x370991
	;; [unrolled: 1-line block ×4, first 2 shown]
	v_add_f64 v[76:77], v[32:33], v[16:17]
	v_add_f64 v[174:175], v[28:29], -v[12:13]
	s_mov_b32 s8, 0x75d4884
	s_mov_b32 s9, 0x3fe7a5f6
	v_add_f64 v[170:171], v[30:31], v[14:15]
	v_add_f64 v[92:93], v[32:33], -v[16:17]
	v_add_f64 v[80:81], v[34:35], v[18:19]
	v_add_f64 v[110:111], v[38:39], -v[22:23]
	s_mov_b32 s18, 0x7c9e640b
	s_mov_b32 s19, 0xbfeca52d
	v_add_f64 v[88:89], v[36:37], v[20:21]
	v_add_f64 v[104:105], v[36:37], -v[20:21]
	s_mov_b32 s16, 0x2b2883cd
	s_mov_b32 s17, 0x3fdc86fa
	v_add_f64 v[96:97], v[38:39], v[22:23]
	v_add_f64 v[126:127], v[42:43], -v[26:27]
	s_mov_b32 s22, 0xeb564b22
	s_mov_b32 s23, 0xbfefdd0d
	v_add_f64 v[100:101], v[40:41], v[24:25]
	v_add_f64 v[116:117], v[40:41], -v[24:25]
	s_mov_b32 s20, 0x3259b75e
	s_mov_b32 s21, 0x3fb79ee6
	v_add_f64 v[112:113], v[42:43], v[26:27]
	v_add_f64 v[146:147], v[50:51], -v[46:47]
	s_mov_b32 s38, 0x923c349f
	s_mov_b32 s39, 0x3feec746
	s_mov_b32 s27, 0xbfeec746
	s_mov_b32 s26, s38
	v_add_f64 v[106:107], v[48:49], v[44:45]
	v_mul_f64 v[158:159], v[164:165], s[0:1]
	v_add_f64 v[136:137], v[48:49], -v[44:45]
	s_mov_b32 s24, 0xc61f0d01
	s_mov_b32 s25, 0xbfd183b1
	v_mul_f64 v[78:79], v[94:95], s[6:7]
	v_add_f64 v[122:123], v[50:51], v[46:47]
	v_add_f64 v[160:161], v[54:55], -v[58:59]
	s_mov_b32 s34, 0x6c9a05f6
	s_mov_b32 s35, 0xbfe9895b
	v_add_f64 v[118:119], v[52:53], v[56:57]
	v_mul_f64 v[172:173], v[174:175], s[0:1]
	v_add_f64 v[152:153], v[52:53], -v[56:57]
	s_mov_b32 s28, 0x6ed5f1bb
	s_mov_b32 s29, 0xbfe348c8
	v_mul_f64 v[82:83], v[92:93], s[6:7]
	v_add_f64 v[132:133], v[54:55], v[58:59]
	v_mul_f64 v[90:91], v[110:111], s[18:19]
	v_add_f64 v[166:167], v[62:63], -v[66:67]
	s_mov_b32 s40, 0x4363dd80
	s_mov_b32 s41, 0x3fe0d888
	v_mul_f64 v[98:99], v[104:105], s[18:19]
	s_mov_b32 s45, 0xbfe0d888
	s_mov_b32 s44, s40
	v_add_f64 v[128:129], v[60:61], v[64:65]
	v_mul_f64 v[102:103], v[126:127], s[22:23]
	v_add_f64 v[154:155], v[60:61], -v[64:65]
	s_mov_b32 s30, 0x910ea3b9
	s_mov_b32 s31, 0xbfeb34fa
	v_mul_f64 v[114:115], v[116:117], s[22:23]
	v_add_f64 v[142:143], v[62:63], v[66:67]
	v_add_f64 v[168:169], v[70:71], -v[74:75]
	s_mov_b32 s42, 0xacd6c6b4
	v_mul_f64 v[108:109], v[146:147], s[26:27]
	s_mov_b32 s43, 0x3fc7851a
	s_mov_b32 s49, 0xbfc7851a
	;; [unrolled: 1-line block ×3, first 2 shown]
	v_add_f64 v[138:139], v[68:69], v[72:73]
	v_add_f64 v[162:163], v[68:69], -v[72:73]
	v_fma_f64 v[0:1], v[156:157], s[10:11], v[158:159]
	v_mul_f64 v[124:125], v[136:137], s[26:27]
	s_mov_b32 s36, 0x7faef3
	s_mov_b32 s37, 0xbfef7484
	v_fma_f64 v[2:3], v[76:77], s[8:9], v[78:79]
	v_add_f64 v[148:149], v[70:71], v[74:75]
	v_mul_f64 v[120:121], v[160:161], s[34:35]
	v_mul_f64 v[233:234], v[164:165], s[6:7]
	;; [unrolled: 1-line block ×8, first 2 shown]
	v_fma_f64 v[4:5], v[80:81], s[8:9], -v[82:83]
	v_mul_f64 v[186:187], v[126:127], s[48:49]
	v_mul_f64 v[211:212], v[116:117], s[48:49]
	v_mul_f64 v[130:131], v[166:167], s[44:45]
	v_mul_f64 v[188:189], v[146:147], s[40:41]
	v_mul_f64 v[221:222], v[136:137], s[40:41]
	v_mul_f64 v[190:191], v[160:161], s[38:39]
	v_mul_f64 v[201:202], v[152:153], s[38:39]
	s_mov_b32 s47, 0x3feca52d
	s_mov_b32 s46, s18
	;; [unrolled: 1-line block ×3, first 2 shown]
	v_mul_f64 v[144:145], v[154:155], s[44:45]
	v_mul_f64 v[192:193], v[166:167], s[46:47]
	;; [unrolled: 1-line block ×3, first 2 shown]
	s_mov_b32 s50, s0
	v_mul_f64 v[237:238], v[164:165], s[18:19]
	v_mul_f64 v[140:141], v[168:169], s[48:49]
	;; [unrolled: 1-line block ×9, first 2 shown]
	v_add_f64 v[0:1], v[8:9], v[0:1]
	v_mul_f64 v[205:206], v[162:163], s[50:51]
	s_mov_b32 s53, 0x3fe58eea
	s_mov_b32 s52, s6
	v_mul_f64 v[217:218], v[160:161], s[0:1]
	v_mul_f64 v[225:226], v[146:147], s[52:53]
	;; [unrolled: 1-line block ×4, first 2 shown]
	v_fma_f64 v[6:7], v[76:77], s[20:21], v[176:177]
	v_mul_f64 v[213:214], v[166:167], s[22:23]
	v_fma_f64 v[84:85], v[80:81], s[20:21], -v[182:183]
	v_mul_f64 v[223:224], v[154:155], s[22:23]
	s_barrier
	buffer_gl0_inv
	v_fma_f64 v[86:87], v[76:77], s[28:29], v[178:179]
	v_fma_f64 v[184:185], v[80:81], s[28:29], -v[199:200]
	v_add_f64 v[0:1], v[2:3], v[0:1]
	v_fma_f64 v[2:3], v[170:171], s[10:11], -v[172:173]
	s_delay_alu instid0(VALU_DEP_1) | instskip(NEXT) | instid1(VALU_DEP_1)
	v_add_f64 v[2:3], v[10:11], v[2:3]
	v_add_f64 v[2:3], v[4:5], v[2:3]
	v_fma_f64 v[4:5], v[88:89], s[16:17], v[90:91]
	s_delay_alu instid0(VALU_DEP_1) | instskip(SKIP_1) | instid1(VALU_DEP_1)
	v_add_f64 v[0:1], v[4:5], v[0:1]
	v_fma_f64 v[4:5], v[96:97], s[16:17], -v[98:99]
	v_add_f64 v[2:3], v[4:5], v[2:3]
	v_fma_f64 v[4:5], v[100:101], s[20:21], v[102:103]
	s_delay_alu instid0(VALU_DEP_1) | instskip(SKIP_1) | instid1(VALU_DEP_1)
	v_add_f64 v[0:1], v[4:5], v[0:1]
	v_fma_f64 v[4:5], v[112:113], s[20:21], -v[114:115]
	;; [unrolled: 5-line block ×6, first 2 shown]
	v_add_f64 v[2:3], v[4:5], v[2:3]
	v_fma_f64 v[4:5], v[156:157], s[8:9], v[233:234]
	s_delay_alu instid0(VALU_DEP_1) | instskip(NEXT) | instid1(VALU_DEP_1)
	v_add_f64 v[4:5], v[8:9], v[4:5]
	v_add_f64 v[4:5], v[6:7], v[4:5]
	v_fma_f64 v[6:7], v[170:171], s[8:9], -v[235:236]
	s_delay_alu instid0(VALU_DEP_1) | instskip(NEXT) | instid1(VALU_DEP_1)
	v_add_f64 v[6:7], v[10:11], v[6:7]
	v_add_f64 v[6:7], v[84:85], v[6:7]
	v_fma_f64 v[84:85], v[88:89], s[28:29], v[180:181]
	s_delay_alu instid0(VALU_DEP_1) | instskip(SKIP_1) | instid1(VALU_DEP_1)
	v_add_f64 v[4:5], v[84:85], v[4:5]
	v_fma_f64 v[84:85], v[96:97], s[28:29], -v[197:198]
	v_add_f64 v[6:7], v[84:85], v[6:7]
	v_fma_f64 v[84:85], v[100:101], s[36:37], v[186:187]
	s_delay_alu instid0(VALU_DEP_1) | instskip(SKIP_1) | instid1(VALU_DEP_1)
	v_add_f64 v[4:5], v[84:85], v[4:5]
	v_fma_f64 v[84:85], v[112:113], s[36:37], -v[211:212]
	;; [unrolled: 5-line block ×6, first 2 shown]
	v_add_f64 v[6:7], v[84:85], v[6:7]
	v_fma_f64 v[84:85], v[156:157], s[16:17], v[237:238]
	s_delay_alu instid0(VALU_DEP_1) | instskip(NEXT) | instid1(VALU_DEP_1)
	v_add_f64 v[84:85], v[8:9], v[84:85]
	v_add_f64 v[84:85], v[86:87], v[84:85]
	v_fma_f64 v[86:87], v[170:171], s[16:17], -v[239:240]
	s_delay_alu instid0(VALU_DEP_1) | instskip(NEXT) | instid1(VALU_DEP_1)
	v_add_f64 v[86:87], v[10:11], v[86:87]
	v_add_f64 v[86:87], v[184:185], v[86:87]
	v_mul_f64 v[184:185], v[110:111], s[42:43]
	s_delay_alu instid0(VALU_DEP_1) | instskip(NEXT) | instid1(VALU_DEP_1)
	v_fma_f64 v[207:208], v[88:89], s[36:37], v[184:185]
	v_add_f64 v[84:85], v[207:208], v[84:85]
	v_fma_f64 v[207:208], v[96:97], s[36:37], -v[215:216]
	s_delay_alu instid0(VALU_DEP_1) | instskip(SKIP_1) | instid1(VALU_DEP_1)
	v_add_f64 v[86:87], v[207:208], v[86:87]
	v_mul_f64 v[207:208], v[126:127], s[38:39]
	v_fma_f64 v[209:210], v[100:101], s[24:25], v[207:208]
	s_delay_alu instid0(VALU_DEP_1) | instskip(SKIP_1) | instid1(VALU_DEP_1)
	v_add_f64 v[84:85], v[209:210], v[84:85]
	v_fma_f64 v[209:210], v[112:113], s[24:25], -v[227:228]
	v_add_f64 v[86:87], v[209:210], v[86:87]
	v_fma_f64 v[209:210], v[106:107], s[8:9], v[225:226]
	s_delay_alu instid0(VALU_DEP_1) | instskip(SKIP_1) | instid1(VALU_DEP_1)
	v_add_f64 v[84:85], v[209:210], v[84:85]
	v_fma_f64 v[209:210], v[122:123], s[8:9], -v[231:232]
	v_add_f64 v[86:87], v[209:210], v[86:87]
	;; [unrolled: 5-line block ×4, first 2 shown]
	v_mul_f64 v[209:210], v[168:169], s[44:45]
	s_delay_alu instid0(VALU_DEP_1) | instskip(NEXT) | instid1(VALU_DEP_1)
	v_fma_f64 v[219:220], v[138:139], s[30:31], v[209:210]
	v_add_f64 v[84:85], v[219:220], v[84:85]
	v_mul_f64 v[219:220], v[162:163], s[44:45]
	s_delay_alu instid0(VALU_DEP_1) | instskip(NEXT) | instid1(VALU_DEP_1)
	v_fma_f64 v[242:243], v[148:149], s[30:31], -v[219:220]
	v_add_f64 v[86:87], v[242:243], v[86:87]
	s_and_saveexec_b32 s33, vcc_lo
	s_cbranch_execz .LBB0_7
; %bb.6:
	v_add_f64 v[28:29], v[8:9], v[28:29]
	v_add_f64 v[30:31], v[10:11], v[30:31]
	s_mov_b32 s55, 0x3fe9895b
	s_mov_b32 s54, s34
	;; [unrolled: 1-line block ×4, first 2 shown]
	s_delay_alu instid0(VALU_DEP_2) | instskip(NEXT) | instid1(VALU_DEP_2)
	v_add_f64 v[28:29], v[28:29], v[32:33]
	v_add_f64 v[30:31], v[30:31], v[34:35]
	v_mul_f64 v[32:33], v[170:171], s[20:21]
	s_delay_alu instid0(VALU_DEP_3) | instskip(NEXT) | instid1(VALU_DEP_3)
	v_add_f64 v[28:29], v[28:29], v[36:37]
	v_add_f64 v[30:31], v[30:31], v[38:39]
	v_mul_f64 v[38:39], v[156:157], s[16:17]
	s_delay_alu instid0(VALU_DEP_4)
	v_fma_f64 v[34:35], v[174:175], s[56:57], v[32:33]
	v_mul_f64 v[36:37], v[170:171], s[16:17]
	v_fma_f64 v[32:33], v[174:175], s[22:23], v[32:33]
	v_add_f64 v[28:29], v[28:29], v[40:41]
	v_add_f64 v[30:31], v[30:31], v[42:43]
	v_mul_f64 v[42:43], v[156:157], s[8:9]
	v_add_f64 v[38:39], v[38:39], -v[237:238]
	v_mul_f64 v[40:41], v[170:171], s[8:9]
	v_add_f64 v[36:37], v[239:240], v[36:37]
	v_mul_f64 v[237:238], v[168:169], s[56:57]
	v_add_f64 v[28:29], v[28:29], v[48:49]
	v_add_f64 v[30:31], v[30:31], v[50:51]
	v_mul_f64 v[48:49], v[164:165], s[44:45]
	v_mul_f64 v[50:51], v[164:165], s[34:35]
	v_add_f64 v[42:43], v[42:43], -v[233:234]
	v_add_f64 v[40:41], v[235:236], v[40:41]
	v_mul_f64 v[235:236], v[148:149], s[20:21]
	v_add_f64 v[28:29], v[28:29], v[52:53]
	v_add_f64 v[30:31], v[30:31], v[54:55]
	v_mul_f64 v[52:53], v[164:165], s[26:27]
	v_mul_f64 v[54:55], v[164:165], s[22:23]
	s_delay_alu instid0(VALU_DEP_4) | instskip(NEXT) | instid1(VALU_DEP_4)
	v_add_f64 v[28:29], v[28:29], v[60:61]
	v_add_f64 v[30:31], v[30:31], v[62:63]
	v_fma_f64 v[60:61], v[156:157], s[28:29], v[50:51]
	v_fma_f64 v[50:51], v[156:157], s[28:29], -v[50:51]
	v_fma_f64 v[62:63], v[156:157], s[24:25], v[52:53]
	v_fma_f64 v[52:53], v[156:157], s[24:25], -v[52:53]
	v_add_f64 v[28:29], v[28:29], v[68:69]
	v_add_f64 v[30:31], v[30:31], v[70:71]
	;; [unrolled: 1-line block ×8, first 2 shown]
	s_delay_alu instid0(VALU_DEP_2) | instskip(NEXT) | instid1(VALU_DEP_2)
	v_add_f64 v[28:29], v[28:29], v[64:65]
	v_add_f64 v[30:31], v[30:31], v[66:67]
	v_mul_f64 v[66:67], v[156:157], s[10:11]
	v_fma_f64 v[64:65], v[156:157], s[20:21], v[54:55]
	v_fma_f64 v[54:55], v[156:157], s[20:21], -v[54:55]
	v_add_f64 v[28:29], v[28:29], v[56:57]
	v_add_f64 v[30:31], v[30:31], v[58:59]
	v_fma_f64 v[58:59], v[156:157], s[30:31], v[48:49]
	v_fma_f64 v[48:49], v[156:157], s[30:31], -v[48:49]
	v_add_f64 v[66:67], v[66:67], -v[158:159]
	v_add_f64 v[158:159], v[10:11], v[34:35]
	v_add_f64 v[64:65], v[8:9], v[64:65]
	;; [unrolled: 1-line block ×6, first 2 shown]
	v_mul_f64 v[46:47], v[164:165], s[48:49]
	v_mul_f64 v[44:45], v[170:171], s[10:11]
	v_add_f64 v[58:59], v[8:9], v[58:59]
	v_add_f64 v[48:49], v[8:9], v[48:49]
	;; [unrolled: 1-line block ×7, first 2 shown]
	v_mul_f64 v[28:29], v[170:171], s[24:25]
	v_fma_f64 v[56:57], v[156:157], s[36:37], v[46:47]
	v_fma_f64 v[46:47], v[156:157], s[36:37], -v[46:47]
	v_add_f64 v[44:45], v[172:173], v[44:45]
	v_add_f64 v[20:21], v[24:25], v[20:21]
	;; [unrolled: 1-line block ×3, first 2 shown]
	v_mul_f64 v[24:25], v[170:171], s[28:29]
	v_fma_f64 v[30:31], v[174:175], s[38:39], v[28:29]
	v_add_f64 v[56:57], v[8:9], v[56:57]
	v_add_f64 v[46:47], v[8:9], v[46:47]
	v_fma_f64 v[28:29], v[174:175], s[26:27], v[28:29]
	v_add_f64 v[16:17], v[20:21], v[16:17]
	v_mul_f64 v[20:21], v[170:171], s[30:31]
	v_add_f64 v[18:19], v[22:23], v[18:19]
	v_fma_f64 v[26:27], v[174:175], s[54:55], v[24:25]
	v_fma_f64 v[24:25], v[174:175], s[34:35], v[24:25]
	v_add_f64 v[74:75], v[10:11], v[30:31]
	v_add_f64 v[30:31], v[8:9], v[42:43]
	;; [unrolled: 1-line block ×5, first 2 shown]
	v_mul_f64 v[16:17], v[170:171], s[36:37]
	v_fma_f64 v[22:23], v[174:175], s[40:41], v[20:21]
	v_fma_f64 v[20:21], v[174:175], s[44:45], v[20:21]
	v_add_f64 v[14:15], v[18:19], v[14:15]
	v_add_f64 v[72:73], v[10:11], v[24:25]
	v_mul_f64 v[24:25], v[96:97], s[30:31]
	v_add_f64 v[70:71], v[10:11], v[26:27]
	v_add_f64 v[170:171], v[10:11], v[44:45]
	v_fma_f64 v[18:19], v[174:175], s[42:43], v[16:17]
	v_fma_f64 v[16:17], v[174:175], s[48:49], v[16:17]
	v_add_f64 v[68:69], v[10:11], v[20:21]
	v_mul_f64 v[20:21], v[80:81], s[10:11]
	v_add_f64 v[22:23], v[10:11], v[22:23]
	v_fma_f64 v[26:27], v[104:105], s[40:41], v[24:25]
	v_add_f64 v[18:19], v[10:11], v[18:19]
	v_add_f64 v[16:17], v[10:11], v[16:17]
	v_fma_f64 v[8:9], v[92:93], s[0:1], v[20:21]
	v_fma_f64 v[20:21], v[92:93], s[50:51], v[20:21]
	s_delay_alu instid0(VALU_DEP_2) | instskip(SKIP_1) | instid1(VALU_DEP_3)
	v_add_f64 v[8:9], v[8:9], v[18:19]
	v_mul_f64 v[18:19], v[94:95], s[50:51]
	v_add_f64 v[16:17], v[20:21], v[16:17]
	v_fma_f64 v[20:21], v[104:105], s[44:45], v[24:25]
	v_fma_f64 v[24:25], v[138:139], s[20:21], -v[237:238]
	v_add_f64 v[8:9], v[26:27], v[8:9]
	v_fma_f64 v[10:11], v[76:77], s[10:11], v[18:19]
	v_mul_f64 v[26:27], v[110:111], s[44:45]
	v_fma_f64 v[18:19], v[76:77], s[10:11], -v[18:19]
	v_add_f64 v[16:17], v[20:21], v[16:17]
	s_delay_alu instid0(VALU_DEP_4) | instskip(NEXT) | instid1(VALU_DEP_4)
	v_add_f64 v[10:11], v[10:11], v[56:57]
	v_fma_f64 v[36:37], v[88:89], s[30:31], v[26:27]
	s_delay_alu instid0(VALU_DEP_4) | instskip(SKIP_2) | instid1(VALU_DEP_4)
	v_add_f64 v[18:19], v[18:19], v[46:47]
	v_fma_f64 v[20:21], v[88:89], s[30:31], -v[26:27]
	v_mul_f64 v[26:27], v[94:95], s[46:47]
	v_add_f64 v[10:11], v[36:37], v[10:11]
	v_mul_f64 v[36:37], v[112:113], s[8:9]
	s_delay_alu instid0(VALU_DEP_4) | instskip(NEXT) | instid1(VALU_DEP_2)
	v_add_f64 v[18:19], v[20:21], v[18:19]
	v_fma_f64 v[38:39], v[116:117], s[6:7], v[36:37]
	v_fma_f64 v[20:21], v[116:117], s[52:53], v[36:37]
	v_mul_f64 v[36:37], v[96:97], s[20:21]
	s_delay_alu instid0(VALU_DEP_3) | instskip(SKIP_1) | instid1(VALU_DEP_4)
	v_add_f64 v[8:9], v[38:39], v[8:9]
	v_mul_f64 v[38:39], v[126:127], s[52:53]
	v_add_f64 v[16:17], v[20:21], v[16:17]
	s_delay_alu instid0(VALU_DEP_2) | instskip(SKIP_3) | instid1(VALU_DEP_4)
	v_fma_f64 v[40:41], v[100:101], s[8:9], v[38:39]
	v_fma_f64 v[20:21], v[100:101], s[8:9], -v[38:39]
	v_fma_f64 v[38:39], v[104:105], s[56:57], v[36:37]
	v_fma_f64 v[36:37], v[104:105], s[22:23], v[36:37]
	v_add_f64 v[10:11], v[40:41], v[10:11]
	v_mul_f64 v[40:41], v[122:123], s[28:29]
	v_add_f64 v[18:19], v[20:21], v[18:19]
	s_delay_alu instid0(VALU_DEP_2) | instskip(SKIP_1) | instid1(VALU_DEP_2)
	v_fma_f64 v[42:43], v[136:137], s[54:55], v[40:41]
	v_fma_f64 v[20:21], v[136:137], s[34:35], v[40:41]
	v_add_f64 v[8:9], v[42:43], v[8:9]
	v_mul_f64 v[42:43], v[146:147], s[34:35]
	s_delay_alu instid0(VALU_DEP_3) | instskip(NEXT) | instid1(VALU_DEP_2)
	v_add_f64 v[16:17], v[20:21], v[16:17]
	v_fma_f64 v[44:45], v[106:107], s[28:29], v[42:43]
	v_fma_f64 v[20:21], v[106:107], s[28:29], -v[42:43]
	s_delay_alu instid0(VALU_DEP_2) | instskip(SKIP_1) | instid1(VALU_DEP_3)
	v_add_f64 v[10:11], v[44:45], v[10:11]
	v_mul_f64 v[44:45], v[132:133], s[16:17]
	v_add_f64 v[18:19], v[20:21], v[18:19]
	s_delay_alu instid0(VALU_DEP_2) | instskip(SKIP_1) | instid1(VALU_DEP_2)
	v_fma_f64 v[56:57], v[152:153], s[18:19], v[44:45]
	v_fma_f64 v[20:21], v[152:153], s[46:47], v[44:45]
	v_add_f64 v[8:9], v[56:57], v[8:9]
	v_mul_f64 v[56:57], v[160:161], s[46:47]
	s_delay_alu instid0(VALU_DEP_3) | instskip(NEXT) | instid1(VALU_DEP_2)
	v_add_f64 v[16:17], v[20:21], v[16:17]
	v_fma_f64 v[172:173], v[118:119], s[16:17], v[56:57]
	v_fma_f64 v[20:21], v[118:119], s[16:17], -v[56:57]
	s_delay_alu instid0(VALU_DEP_2) | instskip(SKIP_1) | instid1(VALU_DEP_3)
	v_add_f64 v[10:11], v[172:173], v[10:11]
	v_mul_f64 v[172:173], v[142:143], s[24:25]
	v_add_f64 v[18:19], v[20:21], v[18:19]
	s_delay_alu instid0(VALU_DEP_2) | instskip(SKIP_1) | instid1(VALU_DEP_2)
	v_fma_f64 v[174:175], v[154:155], s[38:39], v[172:173]
	v_fma_f64 v[20:21], v[154:155], s[26:27], v[172:173]
	v_add_f64 v[8:9], v[174:175], v[8:9]
	v_mul_f64 v[174:175], v[166:167], s[26:27]
	s_delay_alu instid0(VALU_DEP_3) | instskip(NEXT) | instid1(VALU_DEP_2)
	v_add_f64 v[16:17], v[20:21], v[16:17]
	v_fma_f64 v[20:21], v[128:129], s[24:25], -v[174:175]
	v_fma_f64 v[233:234], v[128:129], s[24:25], v[174:175]
	s_delay_alu instid0(VALU_DEP_2) | instskip(SKIP_1) | instid1(VALU_DEP_3)
	v_add_f64 v[20:21], v[20:21], v[18:19]
	v_fma_f64 v[18:19], v[162:163], s[56:57], v[235:236]
	v_add_f64 v[233:234], v[233:234], v[10:11]
	v_fma_f64 v[10:11], v[162:163], s[22:23], v[235:236]
	v_mul_f64 v[235:236], v[148:149], s[24:25]
	s_delay_alu instid0(VALU_DEP_4)
	v_add_f64 v[18:19], v[18:19], v[16:17]
	v_add_f64 v[16:17], v[24:25], v[20:21]
	v_mul_f64 v[24:25], v[80:81], s[16:17]
	v_add_f64 v[10:11], v[10:11], v[8:9]
	v_fma_f64 v[8:9], v[138:139], s[20:21], v[237:238]
	v_mul_f64 v[237:238], v[168:169], s[26:27]
	s_delay_alu instid0(VALU_DEP_4) | instskip(SKIP_1) | instid1(VALU_DEP_4)
	v_fma_f64 v[20:21], v[92:93], s[18:19], v[24:25]
	v_fma_f64 v[24:25], v[92:93], s[46:47], v[24:25]
	v_add_f64 v[8:9], v[8:9], v[233:234]
	s_delay_alu instid0(VALU_DEP_3) | instskip(SKIP_1) | instid1(VALU_DEP_4)
	v_add_f64 v[20:21], v[20:21], v[22:23]
	v_fma_f64 v[22:23], v[76:77], s[16:17], v[26:27]
	v_add_f64 v[24:25], v[24:25], v[68:69]
	v_fma_f64 v[26:27], v[76:77], s[16:17], -v[26:27]
	v_mul_f64 v[68:69], v[96:97], s[24:25]
	v_add_f64 v[20:21], v[38:39], v[20:21]
	v_mul_f64 v[38:39], v[110:111], s[22:23]
	v_add_f64 v[22:23], v[22:23], v[58:59]
	v_add_f64 v[26:27], v[26:27], v[48:49]
	;; [unrolled: 1-line block ×3, first 2 shown]
	v_mul_f64 v[48:49], v[76:77], s[20:21]
	v_fma_f64 v[40:41], v[88:89], s[20:21], v[38:39]
	v_fma_f64 v[36:37], v[88:89], s[20:21], -v[38:39]
	v_fma_f64 v[38:39], v[138:139], s[24:25], -v[237:238]
	s_delay_alu instid0(VALU_DEP_4)
	v_add_f64 v[48:49], v[48:49], -v[176:177]
	v_mul_f64 v[176:177], v[122:123], s[16:17]
	v_add_f64 v[22:23], v[40:41], v[22:23]
	v_mul_f64 v[40:41], v[112:113], s[28:29]
	v_add_f64 v[26:27], v[36:37], v[26:27]
	v_add_f64 v[30:31], v[48:49], v[30:31]
	v_mul_f64 v[48:49], v[88:89], s[36:37]
	s_delay_alu instid0(VALU_DEP_4) | instskip(SKIP_2) | instid1(VALU_DEP_4)
	v_fma_f64 v[42:43], v[116:117], s[34:35], v[40:41]
	v_fma_f64 v[36:37], v[116:117], s[54:55], v[40:41]
	v_mul_f64 v[40:41], v[96:97], s[28:29]
	v_add_f64 v[48:49], v[48:49], -v[184:185]
	v_mul_f64 v[184:185], v[142:143], s[28:29]
	v_add_f64 v[20:21], v[42:43], v[20:21]
	v_mul_f64 v[42:43], v[126:127], s[54:55]
	v_add_f64 v[24:25], v[36:37], v[24:25]
	v_add_f64 v[40:41], v[197:198], v[40:41]
	v_mul_f64 v[197:198], v[126:127], s[18:19]
	s_delay_alu instid0(VALU_DEP_4) | instskip(SKIP_2) | instid1(VALU_DEP_3)
	v_fma_f64 v[44:45], v[100:101], s[28:29], v[42:43]
	v_fma_f64 v[36:37], v[100:101], s[28:29], -v[42:43]
	v_mul_f64 v[42:43], v[80:81], s[20:21]
	v_add_f64 v[22:23], v[44:45], v[22:23]
	v_mul_f64 v[44:45], v[122:123], s[10:11]
	s_delay_alu instid0(VALU_DEP_4) | instskip(NEXT) | instid1(VALU_DEP_4)
	v_add_f64 v[26:27], v[36:37], v[26:27]
	v_add_f64 v[42:43], v[182:183], v[42:43]
	v_mul_f64 v[182:183], v[160:161], s[44:45]
	s_delay_alu instid0(VALU_DEP_4)
	v_fma_f64 v[46:47], v[136:137], s[50:51], v[44:45]
	v_fma_f64 v[36:37], v[136:137], s[0:1], v[44:45]
	v_mul_f64 v[44:45], v[100:101], s[36:37]
	v_add_f64 v[28:29], v[42:43], v[28:29]
	v_mul_f64 v[42:43], v[118:119], s[24:25]
	v_add_f64 v[20:21], v[46:47], v[20:21]
	;; [unrolled: 2-line block ×3, first 2 shown]
	v_add_f64 v[44:45], v[44:45], -v[186:187]
	v_add_f64 v[28:29], v[40:41], v[28:29]
	v_add_f64 v[42:43], v[42:43], -v[190:191]
	v_mul_f64 v[40:41], v[142:143], s[16:17]
	v_mul_f64 v[186:187], v[166:167], s[54:55]
	;; [unrolled: 1-line block ×3, first 2 shown]
	v_fma_f64 v[56:57], v[106:107], s[10:11], v[46:47]
	v_fma_f64 v[36:37], v[106:107], s[10:11], -v[46:47]
	v_mul_f64 v[46:47], v[88:89], s[28:29]
	v_add_f64 v[40:41], v[203:204], v[40:41]
	v_mul_f64 v[203:204], v[132:133], s[20:21]
	v_add_f64 v[22:23], v[56:57], v[22:23]
	;; [unrolled: 2-line block ×3, first 2 shown]
	v_add_f64 v[46:47], v[46:47], -v[180:181]
	v_mul_f64 v[180:181], v[132:133], s[30:31]
	s_delay_alu instid0(VALU_DEP_4)
	v_fma_f64 v[58:59], v[152:153], s[42:43], v[56:57]
	v_fma_f64 v[36:37], v[152:153], s[48:49], v[56:57]
	v_mul_f64 v[56:57], v[106:107], s[30:31]
	v_add_f64 v[30:31], v[46:47], v[30:31]
	v_mul_f64 v[46:47], v[100:101], s[24:25]
	v_add_f64 v[20:21], v[58:59], v[20:21]
	v_mul_f64 v[58:59], v[160:161], s[48:49]
	v_add_f64 v[24:25], v[36:37], v[24:25]
	v_add_f64 v[56:57], v[56:57], -v[188:189]
	v_add_f64 v[30:31], v[44:45], v[30:31]
	v_mul_f64 v[44:45], v[106:107], s[8:9]
	v_add_f64 v[46:47], v[46:47], -v[207:208]
	v_mul_f64 v[188:189], v[148:149], s[8:9]
	v_mul_f64 v[207:208], v[142:143], s[10:11]
	v_fma_f64 v[172:173], v[118:119], s[36:37], v[58:59]
	v_fma_f64 v[36:37], v[118:119], s[36:37], -v[58:59]
	v_mul_f64 v[58:59], v[132:133], s[24:25]
	v_add_f64 v[30:31], v[56:57], v[30:31]
	v_mul_f64 v[56:57], v[76:77], s[28:29]
	v_add_f64 v[44:45], v[44:45], -v[225:226]
	v_add_f64 v[22:23], v[172:173], v[22:23]
	v_mul_f64 v[172:173], v[142:143], s[8:9]
	v_add_f64 v[26:27], v[36:37], v[26:27]
	v_add_f64 v[58:59], v[201:202], v[58:59]
	;; [unrolled: 1-line block ×3, first 2 shown]
	v_mul_f64 v[42:43], v[138:139], s[10:11]
	v_add_f64 v[56:57], v[56:57], -v[178:179]
	v_mul_f64 v[178:179], v[146:147], s[18:19]
	v_mul_f64 v[201:202], v[146:147], s[48:49]
	;; [unrolled: 1-line block ×3, first 2 shown]
	v_fma_f64 v[174:175], v[154:155], s[6:7], v[172:173]
	v_fma_f64 v[36:37], v[154:155], s[52:53], v[172:173]
	v_mul_f64 v[172:173], v[112:113], s[10:11]
	v_add_f64 v[42:43], v[42:43], -v[194:195]
	v_add_f64 v[34:35], v[56:57], v[34:35]
	v_mul_f64 v[56:57], v[80:81], s[36:37]
	v_mul_f64 v[194:195], v[112:113], s[16:17]
	v_add_f64 v[20:21], v[174:175], v[20:21]
	v_mul_f64 v[174:175], v[166:167], s[52:53]
	v_add_f64 v[24:25], v[36:37], v[24:25]
	v_add_f64 v[34:35], v[48:49], v[34:35]
	v_mul_f64 v[48:49], v[80:81], s[24:25]
	s_delay_alu instid0(VALU_DEP_4)
	v_fma_f64 v[36:37], v[128:129], s[8:9], -v[174:175]
	v_fma_f64 v[233:234], v[128:129], s[8:9], v[174:175]
	v_mul_f64 v[174:175], v[126:127], s[50:51]
	v_mul_f64 v[126:127], v[126:127], s[44:45]
	v_add_f64 v[34:35], v[46:47], v[34:35]
	v_add_f64 v[36:37], v[36:37], v[26:27]
	v_fma_f64 v[26:27], v[162:163], s[26:27], v[235:236]
	v_add_f64 v[233:234], v[233:234], v[22:23]
	v_fma_f64 v[22:23], v[162:163], s[38:39], v[235:236]
	v_add_f64 v[34:35], v[44:45], v[34:35]
	s_delay_alu instid0(VALU_DEP_4)
	v_add_f64 v[26:27], v[26:27], v[24:25]
	v_add_f64 v[24:25], v[38:39], v[36:37]
	v_mul_f64 v[38:39], v[112:113], s[36:37]
	v_mul_f64 v[36:37], v[122:123], s[30:31]
	v_add_f64 v[22:23], v[22:23], v[20:21]
	v_fma_f64 v[20:21], v[138:139], s[24:25], v[237:238]
	s_delay_alu instid0(VALU_DEP_4) | instskip(NEXT) | instid1(VALU_DEP_4)
	v_add_f64 v[38:39], v[211:212], v[38:39]
	v_add_f64 v[36:37], v[221:222], v[36:37]
	v_mul_f64 v[211:212], v[148:149], s[28:29]
	s_delay_alu instid0(VALU_DEP_4) | instskip(NEXT) | instid1(VALU_DEP_4)
	v_add_f64 v[20:21], v[20:21], v[233:234]
	v_add_f64 v[28:29], v[38:39], v[28:29]
	v_mul_f64 v[38:39], v[128:129], s[16:17]
	s_delay_alu instid0(VALU_DEP_2) | instskip(NEXT) | instid1(VALU_DEP_2)
	v_add_f64 v[28:29], v[36:37], v[28:29]
	v_add_f64 v[38:39], v[38:39], -v[192:193]
	v_mul_f64 v[36:37], v[148:149], s[10:11]
	v_mul_f64 v[192:193], v[110:111], s[52:53]
	s_delay_alu instid0(VALU_DEP_4) | instskip(NEXT) | instid1(VALU_DEP_4)
	v_add_f64 v[28:29], v[58:59], v[28:29]
	v_add_f64 v[38:39], v[38:39], v[30:31]
	s_delay_alu instid0(VALU_DEP_4)
	v_add_f64 v[36:37], v[205:206], v[36:37]
	v_mul_f64 v[58:59], v[132:133], s[10:11]
	v_mul_f64 v[205:206], v[160:161], s[56:57]
	;; [unrolled: 1-line block ×3, first 2 shown]
	v_add_f64 v[28:29], v[40:41], v[28:29]
	v_mul_f64 v[40:41], v[96:97], s[36:37]
	v_add_f64 v[58:59], v[229:230], v[58:59]
	s_delay_alu instid0(VALU_DEP_3)
	v_add_f64 v[30:31], v[36:37], v[28:29]
	v_add_f64 v[28:29], v[42:43], v[38:39]
	v_mul_f64 v[42:43], v[80:81], s[28:29]
	v_mul_f64 v[38:39], v[112:113], s[24:25]
	v_add_f64 v[40:41], v[215:216], v[40:41]
	v_mul_f64 v[36:37], v[122:123], s[8:9]
	s_delay_alu instid0(VALU_DEP_4) | instskip(NEXT) | instid1(VALU_DEP_4)
	v_add_f64 v[42:43], v[199:200], v[42:43]
	v_add_f64 v[38:39], v[227:228], v[38:39]
	v_mul_f64 v[199:200], v[122:123], s[36:37]
	s_delay_alu instid0(VALU_DEP_4) | instskip(NEXT) | instid1(VALU_DEP_4)
	v_add_f64 v[36:37], v[231:232], v[36:37]
	v_add_f64 v[32:33], v[42:43], v[32:33]
	v_mul_f64 v[42:43], v[118:119], s[10:11]
	s_delay_alu instid0(VALU_DEP_2) | instskip(SKIP_1) | instid1(VALU_DEP_3)
	v_add_f64 v[32:33], v[40:41], v[32:33]
	v_mul_f64 v[40:41], v[142:143], s[20:21]
	v_add_f64 v[42:43], v[42:43], -v[217:218]
	s_delay_alu instid0(VALU_DEP_3) | instskip(NEXT) | instid1(VALU_DEP_3)
	v_add_f64 v[32:33], v[38:39], v[32:33]
	v_add_f64 v[40:41], v[223:224], v[40:41]
	v_mul_f64 v[38:39], v[128:129], s[20:21]
	s_delay_alu instid0(VALU_DEP_4)
	v_add_f64 v[34:35], v[42:43], v[34:35]
	v_mul_f64 v[42:43], v[138:139], s[30:31]
	v_mul_f64 v[223:224], v[148:149], s[16:17]
	v_add_f64 v[32:33], v[36:37], v[32:33]
	v_mul_f64 v[36:37], v[148:149], s[30:31]
	v_add_f64 v[38:39], v[38:39], -v[213:214]
	v_mul_f64 v[213:214], v[168:169], s[34:35]
	v_add_f64 v[42:43], v[42:43], -v[209:210]
	v_mul_f64 v[209:210], v[166:167], s[0:1]
	v_mul_f64 v[166:167], v[166:167], s[48:49]
	v_mul_f64 v[168:169], v[168:169], s[46:47]
	v_add_f64 v[32:33], v[58:59], v[32:33]
	v_add_f64 v[36:37], v[219:220], v[36:37]
	;; [unrolled: 1-line block ×3, first 2 shown]
	v_mul_f64 v[58:59], v[94:95], s[48:49]
	s_delay_alu instid0(VALU_DEP_4) | instskip(SKIP_2) | instid1(VALU_DEP_3)
	v_add_f64 v[32:33], v[40:41], v[32:33]
	v_fma_f64 v[40:41], v[104:105], s[38:39], v[68:69]
	v_fma_f64 v[68:69], v[104:105], s[26:27], v[68:69]
	v_add_f64 v[34:35], v[36:37], v[32:33]
	v_fma_f64 v[36:37], v[92:93], s[48:49], v[56:57]
	v_add_f64 v[32:33], v[42:43], v[38:39]
	v_fma_f64 v[38:39], v[76:77], s[36:37], -v[58:59]
	v_fma_f64 v[56:57], v[92:93], s[42:43], v[56:57]
	v_fma_f64 v[58:59], v[76:77], s[36:37], v[58:59]
	v_add_f64 v[36:37], v[36:37], v[164:165]
	v_mul_f64 v[164:165], v[110:111], s[38:39]
	v_add_f64 v[38:39], v[38:39], v[54:55]
	v_mul_f64 v[54:55], v[80:81], s[30:31]
	v_add_f64 v[56:57], v[56:57], v[158:159]
	v_add_f64 v[58:59], v[58:59], v[64:65]
	;; [unrolled: 1-line block ×3, first 2 shown]
	v_fma_f64 v[40:41], v[88:89], s[24:25], -v[164:165]
	v_fma_f64 v[64:65], v[88:89], s[24:25], v[164:165]
	v_add_f64 v[56:57], v[68:69], v[56:57]
	v_mul_f64 v[68:69], v[100:101], s[20:21]
	s_delay_alu instid0(VALU_DEP_4) | instskip(SKIP_4) | instid1(VALU_DEP_4)
	v_add_f64 v[38:39], v[40:41], v[38:39]
	v_fma_f64 v[40:41], v[116:117], s[50:51], v[172:173]
	v_add_f64 v[58:59], v[64:65], v[58:59]
	v_mul_f64 v[64:65], v[80:81], s[8:9]
	v_add_f64 v[68:69], v[68:69], -v[102:103]
	v_add_f64 v[36:37], v[40:41], v[36:37]
	v_fma_f64 v[40:41], v[100:101], s[10:11], -v[174:175]
	s_delay_alu instid0(VALU_DEP_4) | instskip(NEXT) | instid1(VALU_DEP_2)
	v_add_f64 v[64:65], v[82:83], v[64:65]
	v_add_f64 v[38:39], v[40:41], v[38:39]
	v_fma_f64 v[40:41], v[136:137], s[18:19], v[176:177]
	s_delay_alu instid0(VALU_DEP_3) | instskip(NEXT) | instid1(VALU_DEP_2)
	v_add_f64 v[64:65], v[64:65], v[170:171]
	v_add_f64 v[36:37], v[40:41], v[36:37]
	v_fma_f64 v[40:41], v[106:107], s[16:17], -v[178:179]
	s_delay_alu instid0(VALU_DEP_1) | instskip(SKIP_1) | instid1(VALU_DEP_1)
	v_add_f64 v[38:39], v[40:41], v[38:39]
	v_fma_f64 v[40:41], v[152:153], s[44:45], v[180:181]
	v_add_f64 v[36:37], v[40:41], v[36:37]
	v_fma_f64 v[40:41], v[118:119], s[30:31], -v[182:183]
	s_delay_alu instid0(VALU_DEP_1) | instskip(SKIP_1) | instid1(VALU_DEP_1)
	v_add_f64 v[38:39], v[40:41], v[38:39]
	v_fma_f64 v[40:41], v[154:155], s[54:55], v[184:185]
	;; [unrolled: 5-line block ×3, first 2 shown]
	v_add_f64 v[38:39], v[38:39], v[36:37]
	v_fma_f64 v[36:37], v[138:139], s[8:9], -v[190:191]
	s_delay_alu instid0(VALU_DEP_1) | instskip(SKIP_2) | instid1(VALU_DEP_2)
	v_add_f64 v[36:37], v[36:37], v[40:41]
	v_fma_f64 v[40:41], v[92:93], s[40:41], v[54:55]
	v_fma_f64 v[54:55], v[92:93], s[44:45], v[54:55]
	v_add_f64 v[40:41], v[40:41], v[156:157]
	v_mul_f64 v[156:157], v[94:95], s[40:41]
	s_delay_alu instid0(VALU_DEP_3) | instskip(SKIP_1) | instid1(VALU_DEP_3)
	v_add_f64 v[54:55], v[54:55], v[74:75]
	v_fma_f64 v[74:75], v[162:163], s[6:7], v[188:189]
	v_fma_f64 v[42:43], v[76:77], s[30:31], -v[156:157]
	s_delay_alu instid0(VALU_DEP_1) | instskip(SKIP_1) | instid1(VALU_DEP_1)
	v_add_f64 v[42:43], v[42:43], v[52:53]
	v_mul_f64 v[52:53], v[96:97], s[8:9]
	v_fma_f64 v[44:45], v[104:105], s[52:53], v[52:53]
	v_fma_f64 v[52:53], v[104:105], s[6:7], v[52:53]
	s_delay_alu instid0(VALU_DEP_2) | instskip(SKIP_1) | instid1(VALU_DEP_3)
	v_add_f64 v[40:41], v[44:45], v[40:41]
	v_fma_f64 v[44:45], v[88:89], s[8:9], -v[192:193]
	v_add_f64 v[52:53], v[52:53], v[54:55]
	v_fma_f64 v[54:55], v[88:89], s[8:9], v[192:193]
	s_delay_alu instid0(VALU_DEP_3) | instskip(SKIP_1) | instid1(VALU_DEP_1)
	v_add_f64 v[42:43], v[44:45], v[42:43]
	v_fma_f64 v[44:45], v[116:117], s[18:19], v[194:195]
	v_add_f64 v[40:41], v[44:45], v[40:41]
	v_fma_f64 v[44:45], v[100:101], s[16:17], -v[197:198]
	s_delay_alu instid0(VALU_DEP_1) | instskip(SKIP_1) | instid1(VALU_DEP_1)
	v_add_f64 v[42:43], v[44:45], v[42:43]
	v_fma_f64 v[44:45], v[136:137], s[48:49], v[199:200]
	v_add_f64 v[40:41], v[44:45], v[40:41]
	v_fma_f64 v[44:45], v[106:107], s[36:37], -v[201:202]
	s_delay_alu instid0(VALU_DEP_1) | instskip(SKIP_1) | instid1(VALU_DEP_1)
	;; [unrolled: 5-line block ×4, first 2 shown]
	v_add_f64 v[44:45], v[44:45], v[42:43]
	v_fma_f64 v[42:43], v[162:163], s[34:35], v[211:212]
	v_add_f64 v[42:43], v[42:43], v[40:41]
	v_fma_f64 v[40:41], v[138:139], s[28:29], -v[213:214]
	s_delay_alu instid0(VALU_DEP_1) | instskip(SKIP_2) | instid1(VALU_DEP_2)
	v_add_f64 v[40:41], v[40:41], v[44:45]
	v_fma_f64 v[44:45], v[92:93], s[38:39], v[48:49]
	v_fma_f64 v[48:49], v[92:93], s[26:27], v[48:49]
	v_add_f64 v[44:45], v[44:45], v[72:73]
	v_mul_f64 v[72:73], v[94:95], s[38:39]
	s_delay_alu instid0(VALU_DEP_3) | instskip(NEXT) | instid1(VALU_DEP_2)
	v_add_f64 v[48:49], v[48:49], v[70:71]
	v_fma_f64 v[46:47], v[76:77], s[24:25], -v[72:73]
	v_fma_f64 v[70:71], v[76:77], s[24:25], v[72:73]
	v_fma_f64 v[72:73], v[154:155], s[34:35], v[184:185]
	s_delay_alu instid0(VALU_DEP_3) | instskip(SKIP_1) | instid1(VALU_DEP_4)
	v_add_f64 v[46:47], v[46:47], v[50:51]
	v_mul_f64 v[50:51], v[96:97], s[10:11]
	v_add_f64 v[60:61], v[70:71], v[60:61]
	v_fma_f64 v[70:71], v[138:139], s[16:17], v[168:169]
	s_delay_alu instid0(VALU_DEP_3) | instskip(SKIP_1) | instid1(VALU_DEP_2)
	v_fma_f64 v[94:95], v[104:105], s[0:1], v[50:51]
	v_fma_f64 v[50:51], v[104:105], s[50:51], v[50:51]
	v_add_f64 v[44:45], v[94:95], v[44:45]
	v_mul_f64 v[94:95], v[110:111], s[0:1]
	s_delay_alu instid0(VALU_DEP_3) | instskip(NEXT) | instid1(VALU_DEP_2)
	v_add_f64 v[48:49], v[50:51], v[48:49]
	v_fma_f64 v[110:111], v[88:89], s[10:11], -v[94:95]
	v_fma_f64 v[50:51], v[88:89], s[10:11], v[94:95]
	s_delay_alu instid0(VALU_DEP_2) | instskip(SKIP_1) | instid1(VALU_DEP_3)
	v_add_f64 v[46:47], v[110:111], v[46:47]
	v_mul_f64 v[110:111], v[112:113], s[30:31]
	v_add_f64 v[50:51], v[50:51], v[60:61]
	s_delay_alu instid0(VALU_DEP_2) | instskip(SKIP_1) | instid1(VALU_DEP_2)
	v_fma_f64 v[215:216], v[116:117], s[44:45], v[110:111]
	v_fma_f64 v[60:61], v[116:117], s[40:41], v[110:111]
	v_add_f64 v[44:45], v[215:216], v[44:45]
	v_fma_f64 v[215:216], v[100:101], s[30:31], -v[126:127]
	s_delay_alu instid0(VALU_DEP_3) | instskip(SKIP_1) | instid1(VALU_DEP_3)
	v_add_f64 v[48:49], v[60:61], v[48:49]
	v_fma_f64 v[60:61], v[100:101], s[30:31], v[126:127]
	v_add_f64 v[46:47], v[215:216], v[46:47]
	v_mul_f64 v[215:216], v[122:123], s[20:21]
	s_delay_alu instid0(VALU_DEP_3) | instskip(NEXT) | instid1(VALU_DEP_2)
	v_add_f64 v[50:51], v[60:61], v[50:51]
	v_fma_f64 v[217:218], v[136:137], s[56:57], v[215:216]
	v_fma_f64 v[60:61], v[136:137], s[22:23], v[215:216]
	s_delay_alu instid0(VALU_DEP_2) | instskip(SKIP_1) | instid1(VALU_DEP_3)
	v_add_f64 v[44:45], v[217:218], v[44:45]
	v_fma_f64 v[217:218], v[106:107], s[20:21], -v[146:147]
	v_add_f64 v[48:49], v[60:61], v[48:49]
	v_fma_f64 v[60:61], v[106:107], s[20:21], v[146:147]
	s_delay_alu instid0(VALU_DEP_3) | instskip(SKIP_1) | instid1(VALU_DEP_3)
	v_add_f64 v[46:47], v[217:218], v[46:47]
	v_mul_f64 v[217:218], v[132:133], s[8:9]
	v_add_f64 v[50:51], v[60:61], v[50:51]
	s_delay_alu instid0(VALU_DEP_2) | instskip(SKIP_1) | instid1(VALU_DEP_2)
	v_fma_f64 v[219:220], v[152:153], s[6:7], v[217:218]
	v_fma_f64 v[60:61], v[152:153], s[52:53], v[217:218]
	v_add_f64 v[44:45], v[219:220], v[44:45]
	v_fma_f64 v[219:220], v[118:119], s[8:9], -v[160:161]
	s_delay_alu instid0(VALU_DEP_3) | instskip(SKIP_1) | instid1(VALU_DEP_3)
	v_add_f64 v[48:49], v[60:61], v[48:49]
	v_fma_f64 v[60:61], v[118:119], s[8:9], v[160:161]
	v_add_f64 v[46:47], v[219:220], v[46:47]
	v_mul_f64 v[219:220], v[142:143], s[36:37]
	s_delay_alu instid0(VALU_DEP_3) | instskip(NEXT) | instid1(VALU_DEP_2)
	v_add_f64 v[50:51], v[60:61], v[50:51]
	v_fma_f64 v[60:61], v[154:155], s[42:43], v[219:220]
	v_fma_f64 v[221:222], v[154:155], s[48:49], v[219:220]
	s_delay_alu instid0(VALU_DEP_2) | instskip(SKIP_1) | instid1(VALU_DEP_3)
	v_add_f64 v[48:49], v[60:61], v[48:49]
	v_fma_f64 v[60:61], v[128:129], s[36:37], v[166:167]
	v_add_f64 v[44:45], v[221:222], v[44:45]
	v_fma_f64 v[221:222], v[128:129], s[36:37], -v[166:167]
	s_delay_alu instid0(VALU_DEP_3) | instskip(SKIP_1) | instid1(VALU_DEP_3)
	v_add_f64 v[60:61], v[60:61], v[50:51]
	v_fma_f64 v[50:51], v[162:163], s[18:19], v[223:224]
	v_add_f64 v[221:222], v[221:222], v[46:47]
	v_fma_f64 v[46:47], v[162:163], s[46:47], v[223:224]
	s_delay_alu instid0(VALU_DEP_3)
	v_add_f64 v[50:51], v[50:51], v[48:49]
	v_add_f64 v[48:49], v[70:71], v[60:61]
	v_fma_f64 v[60:61], v[76:77], s[30:31], v[156:157]
	v_fma_f64 v[70:71], v[152:153], s[40:41], v[180:181]
	v_add_f64 v[46:47], v[46:47], v[44:45]
	v_fma_f64 v[44:45], v[138:139], s[16:17], -v[168:169]
	s_delay_alu instid0(VALU_DEP_4) | instskip(SKIP_1) | instid1(VALU_DEP_3)
	v_add_f64 v[60:61], v[60:61], v[62:63]
	v_fma_f64 v[62:63], v[138:139], s[28:29], v[213:214]
	v_add_f64 v[44:45], v[44:45], v[221:222]
	s_delay_alu instid0(VALU_DEP_3) | instskip(SKIP_1) | instid1(VALU_DEP_1)
	v_add_f64 v[54:55], v[54:55], v[60:61]
	v_fma_f64 v[60:61], v[116:117], s[46:47], v[194:195]
	v_add_f64 v[52:53], v[60:61], v[52:53]
	v_fma_f64 v[60:61], v[100:101], s[16:17], v[197:198]
	s_delay_alu instid0(VALU_DEP_1) | instskip(SKIP_1) | instid1(VALU_DEP_1)
	v_add_f64 v[54:55], v[60:61], v[54:55]
	v_fma_f64 v[60:61], v[136:137], s[42:43], v[199:200]
	v_add_f64 v[52:53], v[60:61], v[52:53]
	v_fma_f64 v[60:61], v[106:107], s[36:37], v[201:202]
	s_delay_alu instid0(VALU_DEP_1) | instskip(SKIP_1) | instid1(VALU_DEP_1)
	;; [unrolled: 5-line block ×4, first 2 shown]
	v_add_f64 v[60:61], v[60:61], v[54:55]
	v_fma_f64 v[54:55], v[162:163], s[54:55], v[211:212]
	v_add_f64 v[54:55], v[54:55], v[52:53]
	s_delay_alu instid0(VALU_DEP_3) | instskip(SKIP_2) | instid1(VALU_DEP_2)
	v_add_f64 v[52:53], v[62:63], v[60:61]
	v_fma_f64 v[62:63], v[116:117], s[0:1], v[172:173]
	v_fma_f64 v[60:61], v[136:137], s[46:47], v[176:177]
	v_add_f64 v[56:57], v[62:63], v[56:57]
	v_fma_f64 v[62:63], v[100:101], s[10:11], v[174:175]
	s_delay_alu instid0(VALU_DEP_2) | instskip(NEXT) | instid1(VALU_DEP_2)
	v_add_f64 v[56:57], v[60:61], v[56:57]
	v_add_f64 v[58:59], v[62:63], v[58:59]
	v_fma_f64 v[60:61], v[106:107], s[16:17], v[178:179]
	v_fma_f64 v[62:63], v[138:139], s[8:9], v[190:191]
	s_delay_alu instid0(VALU_DEP_4) | instskip(SKIP_1) | instid1(VALU_DEP_4)
	v_add_f64 v[56:57], v[70:71], v[56:57]
	v_mul_f64 v[70:71], v[88:89], s[16:17]
	v_add_f64 v[58:59], v[60:61], v[58:59]
	v_fma_f64 v[60:61], v[118:119], s[30:31], v[182:183]
	s_delay_alu instid0(VALU_DEP_4) | instskip(SKIP_2) | instid1(VALU_DEP_4)
	v_add_f64 v[56:57], v[72:73], v[56:57]
	v_mul_f64 v[72:73], v[76:77], s[8:9]
	v_add_f64 v[70:71], v[70:71], -v[90:91]
	v_add_f64 v[58:59], v[60:61], v[58:59]
	v_fma_f64 v[60:61], v[128:129], s[28:29], v[186:187]
	v_mul_f64 v[76:77], v[106:107], s[24:25]
	v_add_f64 v[72:73], v[72:73], -v[78:79]
	s_delay_alu instid0(VALU_DEP_3)
	v_add_f64 v[60:61], v[60:61], v[58:59]
	v_add_f64 v[58:59], v[74:75], v[56:57]
	v_mul_f64 v[74:75], v[122:123], s[24:25]
	v_add_f64 v[76:77], v[76:77], -v[108:109]
	v_add_f64 v[66:67], v[72:73], v[66:67]
	v_mul_f64 v[72:73], v[132:133], s[28:29]
	v_add_f64 v[56:57], v[62:63], v[60:61]
	v_mul_f64 v[62:63], v[96:97], s[16:17]
	v_mul_f64 v[60:61], v[112:113], s[20:21]
	v_add_f64 v[74:75], v[124:125], v[74:75]
	v_add_f64 v[72:73], v[134:135], v[72:73]
	s_delay_alu instid0(VALU_DEP_4) | instskip(NEXT) | instid1(VALU_DEP_4)
	v_add_f64 v[62:63], v[98:99], v[62:63]
	v_add_f64 v[60:61], v[114:115], v[60:61]
	s_delay_alu instid0(VALU_DEP_2) | instskip(SKIP_2) | instid1(VALU_DEP_3)
	v_add_f64 v[62:63], v[62:63], v[64:65]
	v_add_f64 v[64:65], v[70:71], v[66:67]
	v_mul_f64 v[66:67], v[118:119], s[28:29]
	v_add_f64 v[60:61], v[60:61], v[62:63]
	s_delay_alu instid0(VALU_DEP_3) | instskip(SKIP_1) | instid1(VALU_DEP_4)
	v_add_f64 v[62:63], v[68:69], v[64:65]
	v_mul_f64 v[64:65], v[142:143], s[30:31]
	v_add_f64 v[66:67], v[66:67], -v[120:121]
	v_mul_f64 v[68:69], v[128:129], s[30:31]
	v_add_f64 v[60:61], v[74:75], v[60:61]
	v_add_f64 v[62:63], v[76:77], v[62:63]
	;; [unrolled: 1-line block ×3, first 2 shown]
	s_delay_alu instid0(VALU_DEP_4) | instskip(NEXT) | instid1(VALU_DEP_4)
	v_add_f64 v[68:69], v[68:69], -v[130:131]
	v_add_f64 v[60:61], v[72:73], v[60:61]
	s_delay_alu instid0(VALU_DEP_4) | instskip(SKIP_1) | instid1(VALU_DEP_3)
	v_add_f64 v[62:63], v[66:67], v[62:63]
	v_mul_f64 v[66:67], v[148:149], s[36:37]
	v_add_f64 v[60:61], v[64:65], v[60:61]
	v_mul_f64 v[64:65], v[138:139], s[36:37]
	s_delay_alu instid0(VALU_DEP_3) | instskip(SKIP_1) | instid1(VALU_DEP_3)
	v_add_f64 v[66:67], v[150:151], v[66:67]
	v_add_f64 v[68:69], v[68:69], v[62:63]
	v_add_f64 v[64:65], v[64:65], -v[140:141]
	s_delay_alu instid0(VALU_DEP_3) | instskip(NEXT) | instid1(VALU_DEP_2)
	v_add_f64 v[62:63], v[66:67], v[60:61]
	v_add_f64 v[60:61], v[64:65], v[68:69]
	v_mul_lo_u16 v64, v245, 17
	s_delay_alu instid0(VALU_DEP_1) | instskip(NEXT) | instid1(VALU_DEP_1)
	v_and_b32_e32 v64, 0xffff, v64
	v_add_lshl_u32 v64, v241, v64, 4
	ds_store_b128 v64, v[28:31] offset:32
	ds_store_b128 v64, v[32:35] offset:48
	;; [unrolled: 1-line block ×15, first 2 shown]
	ds_store_b128 v64, v[12:15]
	ds_store_b128 v64, v[0:3] offset:256
.LBB0_7:
	s_or_b32 exec_lo, exec_lo, s33
	v_add_nc_u16 v8, v245, 0x55
	v_and_b32_e32 v9, 0xff, v245
	v_add_co_u32 v13, null, 0xff, v245
	v_add_co_u32 v14, null, 0x154, v245
	s_delay_alu instid0(VALU_DEP_4) | instskip(NEXT) | instid1(VALU_DEP_4)
	v_and_b32_e32 v10, 0xff, v8
	v_mul_lo_u16 v12, 0xf1, v9
	v_add_nc_u16 v9, v245, 0xaa
	v_add_co_u32 v15, null, 0x1a9, v245
	s_delay_alu instid0(VALU_DEP_4) | instskip(NEXT) | instid1(VALU_DEP_4)
	v_mul_lo_u16 v10, 0xf1, v10
	v_lshrrev_b16 v23, 12, v12
	s_delay_alu instid0(VALU_DEP_4)
	v_and_b32_e32 v18, 0xff, v9
	v_and_b32_e32 v19, 0xffff, v13
	v_add_co_u32 v17, null, 0x1fe, v245
	v_lshrrev_b16 v24, 12, v10
	v_mul_lo_u16 v11, v23, 17
	v_and_b32_e32 v20, 0xffff, v14
	v_and_b32_e32 v21, 0xffff, v15
	;; [unrolled: 1-line block ×3, first 2 shown]
	v_mul_lo_u16 v16, v24, 17
	v_sub_nc_u16 v11, v245, v11
	s_load_b128 s[4:7], s[4:5], 0x0
	v_mul_u32_u24_e32 v21, 0xf0f1, v21
	s_waitcnt lgkmcnt(0)
	v_sub_nc_u16 v16, v8, v16
	v_and_b32_e32 v25, 0xff, v11
	v_mul_lo_u16 v11, 0xf1, v18
	v_mul_u32_u24_e32 v18, 0xf0f1, v20
	s_barrier
	v_and_b32_e32 v26, 0xff, v16
	v_mul_u32_u24_e32 v16, 0xf0f1, v19
	v_lshlrev_b32_e32 v19, 4, v25
	v_lshrrev_b16 v27, 12, v11
	v_lshrrev_b32_e32 v29, 20, v18
	v_lshlrev_b32_e32 v20, 4, v26
	v_lshrrev_b32_e32 v28, 20, v16
	v_mul_u32_u24_e32 v16, 0xf0f1, v22
	buffer_gl0_inv
	s_clause 0x1
	global_load_b128 v[41:44], v19, s[2:3]
	global_load_b128 v[37:40], v20, s[2:3]
	v_mul_lo_u16 v18, v27, 17
	v_lshrrev_b32_e32 v30, 20, v21
	v_mul_lo_u16 v19, v28, 17
	v_lshrrev_b32_e32 v31, 20, v16
	v_mul_lo_u16 v16, v29, 17
	v_sub_nc_u16 v18, v9, v18
	v_mul_lo_u16 v20, v30, 17
	v_sub_nc_u16 v32, v13, v19
	;; [unrolled: 2-line block ×3, first 2 shown]
	v_and_b32_e32 v34, 0xff, v18
	v_sub_nc_u16 v35, v15, v20
	v_and_b32_e32 v14, 0xffff, v32
	v_sub_nc_u16 v36, v17, v13
	v_and_b32_e32 v13, 0xffff, v33
	v_lshlrev_b32_e32 v15, 4, v34
	v_and_b32_e32 v16, 0xffff, v35
	v_lshlrev_b32_e32 v14, 4, v14
	;; [unrolled: 2-line block ×3, first 2 shown]
	global_load_b128 v[106:109], v15, s[2:3]
	v_add_lshl_u32 v255, v241, v245, 4
	global_load_b128 v[114:117], v14, s[2:3]
	v_lshlrev_b32_e32 v15, 4, v16
	v_lshlrev_b32_e32 v14, 4, v17
	s_clause 0x2
	global_load_b128 v[118:121], v13, s[2:3]
	global_load_b128 v[110:113], v15, s[2:3]
	;; [unrolled: 1-line block ×3, first 2 shown]
	ds_load_b128 v[13:16], v255 offset:9520
	ds_load_b128 v[17:20], v255 offset:10880
	;; [unrolled: 1-line block ×8, first 2 shown]
	v_cmp_gt_u16_e64 s0, 0x44, v245
	s_waitcnt vmcnt(6) lgkmcnt(7)
	v_mul_f64 v[21:22], v[15:16], v[43:44]
	v_mul_f64 v[76:77], v[13:14], v[43:44]
	s_waitcnt vmcnt(5) lgkmcnt(6)
	v_mul_f64 v[78:79], v[19:20], v[39:40]
	v_mul_f64 v[80:81], v[17:18], v[39:40]
	s_clause 0x1
	scratch_store_b128 off, v[41:44], off offset:28
	scratch_store_b128 off, v[37:40], off offset:12
	s_waitcnt vmcnt(4) lgkmcnt(5)
	v_mul_f64 v[82:83], v[54:55], v[108:109]
	v_mul_f64 v[88:89], v[52:53], v[108:109]
	s_waitcnt vmcnt(3) lgkmcnt(4)
	v_mul_f64 v[90:91], v[58:59], v[116:117]
	v_mul_f64 v[92:93], v[56:57], v[116:117]
	s_clause 0x1
	scratch_store_b128 off, v[106:109], off offset:76
	scratch_store_b128 off, v[114:117], off offset:92
	s_waitcnt vmcnt(2) lgkmcnt(3)
	v_mul_f64 v[94:95], v[62:63], v[120:121]
	v_mul_f64 v[96:97], v[60:61], v[120:121]
	s_waitcnt vmcnt(1) lgkmcnt(2)
	v_mul_f64 v[98:99], v[66:67], v[112:113]
	v_mul_f64 v[100:101], v[64:65], v[112:113]
	;; [unrolled: 3-line block ×3, first 2 shown]
	s_clause 0x2
	scratch_store_b128 off, v[110:113], off offset:60
	scratch_store_b128 off, v[45:48], off offset:44
	;; [unrolled: 1-line block ×3, first 2 shown]
	v_fma_f64 v[21:22], v[13:14], v[41:42], -v[21:22]
	v_fma_f64 v[76:77], v[15:16], v[41:42], v[76:77]
	v_fma_f64 v[78:79], v[17:18], v[37:38], -v[78:79]
	v_fma_f64 v[80:81], v[19:20], v[37:38], v[80:81]
	;; [unrolled: 2-line block ×7, first 2 shown]
	ds_load_b128 v[13:16], v255
	ds_load_b128 v[17:20], v255 offset:1360
	ds_load_b128 v[52:55], v255 offset:2720
	;; [unrolled: 1-line block ×5, first 2 shown]
	s_waitcnt lgkmcnt(0)
	s_waitcnt_vscnt null, 0x0
	s_barrier
	buffer_gl0_inv
	v_add_f64 v[68:69], v[13:14], -v[21:22]
	v_add_f64 v[70:71], v[15:16], -v[76:77]
	;; [unrolled: 1-line block ×4, first 2 shown]
	v_mul_lo_u16 v21, v23, 34
	v_and_b32_e32 v22, 0xffff, v24
	v_and_b32_e32 v23, 0xffff, v27
	v_mad_u16 v24, v28, 34, v32
	v_mad_u16 v27, v30, 34, v35
	v_and_b32_e32 v21, 0xfe, v21
	v_mul_u32_u24_e32 v22, 34, v22
	v_add_f64 v[80:81], v[52:53], -v[82:83]
	v_add_f64 v[82:83], v[54:55], -v[88:89]
	;; [unrolled: 1-line block ×4, first 2 shown]
	v_mul_u32_u24_e32 v23, 34, v23
	v_add_nc_u32_e32 v21, v21, v25
	v_add_f64 v[100:101], v[60:61], -v[94:95]
	v_add_f64 v[102:103], v[62:63], -v[106:107]
	;; [unrolled: 1-line block ×6, first 2 shown]
	v_mad_u16 v25, v29, 34, v33
	v_mad_u16 v28, v31, 34, v36
	v_add_lshl_u32 v29, v241, v21, 4
	v_add_nc_u32_e32 v21, v22, v26
	v_add_nc_u32_e32 v22, v23, v34
	v_and_b32_e32 v23, 0xffff, v24
	v_and_b32_e32 v24, 0xffff, v25
	;; [unrolled: 1-line block ×4, first 2 shown]
	v_add_lshl_u32 v27, v241, v21, 4
	v_add_lshl_u32 v21, v241, v22, 4
	scratch_store_b32 off, v29, off offset:128 ; 4-byte Folded Spill
	v_add_lshl_u32 v22, v241, v26, 4
	v_fma_f64 v[13:14], v[13:14], 2.0, -v[68:69]
	v_fma_f64 v[15:16], v[15:16], 2.0, -v[70:71]
	;; [unrolled: 1-line block ×14, first 2 shown]
	v_add_lshl_u32 v75, v241, v23, 4
	v_add_lshl_u32 v23, v241, v24, 4
	v_add_lshl_u32 v24, v241, v25, 4
	ds_store_b128 v29, v[13:16]
	ds_store_b128 v29, v[68:71] offset:272
	ds_store_b128 v27, v[17:20]
	scratch_store_b32 off, v27, off offset:132 ; 4-byte Folded Spill
	ds_store_b128 v27, v[76:79] offset:272
	ds_store_b128 v21, v[52:55]
	scratch_store_b32 off, v21, off offset:124 ; 4-byte Folded Spill
	ds_store_b128 v21, v[80:83] offset:272
	ds_store_b128 v75, v[56:59]
	ds_store_b128 v75, v[96:99] offset:272
	ds_store_b128 v23, v[60:63]
	scratch_store_b32 off, v23, off offset:312 ; 4-byte Folded Spill
	ds_store_b128 v23, v[100:103] offset:272
	ds_store_b128 v24, v[88:91]
	scratch_store_b32 off, v24, off offset:308 ; 4-byte Folded Spill
	;; [unrolled: 3-line block ×3, first 2 shown]
	ds_store_b128 v22, v[104:107] offset:272
	s_waitcnt lgkmcnt(0)
	s_waitcnt_vscnt null, 0x0
	s_barrier
	buffer_gl0_inv
	ds_load_b128 v[100:103], v255
	ds_load_b128 v[96:99], v255 offset:1360
	ds_load_b128 v[128:131], v255 offset:3808
	;; [unrolled: 1-line block ×9, first 2 shown]
	s_and_saveexec_b32 s1, s0
	s_cbranch_execz .LBB0_9
; %bb.8:
	ds_load_b128 v[88:91], v255 offset:2720
	ds_load_b128 v[92:95], v255 offset:6528
	;; [unrolled: 1-line block ×5, first 2 shown]
.LBB0_9:
	s_or_b32 exec_lo, exec_lo, s1
	v_lshrrev_b16 v144, 13, v12
	v_lshrrev_b16 v146, 13, v10
	;; [unrolled: 1-line block ×3, first 2 shown]
	s_mov_b32 s8, 0x134454ff
	s_mov_b32 s9, 0x3fee6f0e
	v_mul_lo_u16 v12, v144, 34
	s_mov_b32 s11, 0xbfee6f0e
	scratch_store_b32 off, v11, off offset:4 ; 4-byte Folded Spill
	v_mul_lo_u16 v11, v11, 34
	s_mov_b32 s10, s8
	v_sub_nc_u16 v10, v245, v12
	v_mul_lo_u16 v12, v146, 34
	s_mov_b32 s16, 0x4755a5e
	s_mov_b32 s17, 0x3fe2cf23
	;; [unrolled: 1-line block ×3, first 2 shown]
	v_and_b32_e32 v145, 0xff, v10
	v_sub_nc_u16 v8, v8, v12
	s_mov_b32 s18, s16
	s_mov_b32 s20, 0x372fe950
	;; [unrolled: 1-line block ×3, first 2 shown]
	v_lshlrev_b32_e32 v10, 6, v145
	v_and_b32_e32 v24, 0xff, v8
	v_sub_nc_u16 v8, v9, v11
	s_clause 0x1
	global_load_b128 v[76:79], v10, s[2:3] offset:288
	global_load_b128 v[61:64], v10, s[2:3] offset:272
	v_lshlrev_b32_e32 v9, 6, v24
	v_and_b32_e32 v8, 0xff, v8
	s_clause 0x4
	global_load_b128 v[53:56], v10, s[2:3] offset:304
	global_load_b128 v[57:60], v10, s[2:3] offset:320
	;; [unrolled: 1-line block ×5, first 2 shown]
	scratch_store_b32 off, v8, off offset:8 ; 4-byte Folded Spill
	v_lshlrev_b32_e32 v8, 6, v8
	s_clause 0x4
	global_load_b128 v[45:48], v9, s[2:3] offset:320
	global_load_b128 v[29:32], v8, s[2:3] offset:288
	;; [unrolled: 1-line block ×5, first 2 shown]
	s_waitcnt vmcnt(11) lgkmcnt(5)
	v_mul_f64 v[10:11], v[134:135], v[78:79]
	s_waitcnt vmcnt(10)
	v_mul_f64 v[8:9], v[130:131], v[63:64]
	v_mul_f64 v[14:15], v[128:129], v[63:64]
	;; [unrolled: 1-line block ×3, first 2 shown]
	s_waitcnt vmcnt(9) lgkmcnt(3)
	v_mul_f64 v[12:13], v[138:139], v[55:56]
	s_waitcnt vmcnt(8) lgkmcnt(1)
	v_mul_f64 v[16:17], v[142:143], v[59:60]
	v_mul_f64 v[20:21], v[136:137], v[55:56]
	;; [unrolled: 1-line block ×3, first 2 shown]
	s_waitcnt vmcnt(7)
	v_mul_f64 v[147:148], v[114:115], v[51:52]
	s_waitcnt vmcnt(6)
	v_mul_f64 v[149:150], v[118:119], v[43:44]
	;; [unrolled: 2-line block ×3, first 2 shown]
	v_mul_f64 v[153:154], v[112:113], v[51:52]
	s_waitcnt vmcnt(4) lgkmcnt(0)
	v_mul_f64 v[155:156], v[126:127], v[47:48]
	v_mul_f64 v[157:158], v[116:117], v[43:44]
	;; [unrolled: 1-line block ×4, first 2 shown]
	s_waitcnt vmcnt(3)
	v_mul_f64 v[163:164], v[110:111], v[31:32]
	v_mul_f64 v[165:166], v[108:109], v[31:32]
	s_waitcnt vmcnt(2)
	v_mul_f64 v[167:168], v[106:107], v[27:28]
	v_mul_f64 v[169:170], v[104:105], v[27:28]
	;; [unrolled: 3-line block ×4, first 2 shown]
	s_clause 0x9
	scratch_store_b128 off, v[61:64], off offset:216
	scratch_store_b128 off, v[57:60], off offset:200
	;; [unrolled: 1-line block ×10, first 2 shown]
	s_waitcnt_vscnt null, 0x0
	s_barrier
	buffer_gl0_inv
	v_fma_f64 v[132:133], v[132:133], v[76:77], -v[10:11]
	v_fma_f64 v[128:129], v[128:129], v[61:62], -v[8:9]
	v_fma_f64 v[130:131], v[130:131], v[61:62], v[14:15]
	v_fma_f64 v[18:19], v[134:135], v[76:77], v[18:19]
	v_fma_f64 v[136:137], v[136:137], v[53:54], -v[12:13]
	v_fma_f64 v[16:17], v[140:141], v[57:58], -v[16:17]
	v_fma_f64 v[20:21], v[138:139], v[53:54], v[20:21]
	v_fma_f64 v[22:23], v[142:143], v[57:58], v[22:23]
	v_fma_f64 v[112:113], v[112:113], v[49:50], -v[147:148]
	v_fma_f64 v[116:117], v[116:117], v[41:42], -v[149:150]
	;; [unrolled: 1-line block ×3, first 2 shown]
	v_fma_f64 v[114:115], v[114:115], v[49:50], v[153:154]
	v_fma_f64 v[124:125], v[124:125], v[45:46], -v[155:156]
	v_fma_f64 v[118:119], v[118:119], v[41:42], v[157:158]
	v_fma_f64 v[122:123], v[122:123], v[80:81], v[159:160]
	;; [unrolled: 1-line block ×3, first 2 shown]
	v_fma_f64 v[12:13], v[108:109], v[29:30], -v[163:164]
	v_fma_f64 v[14:15], v[110:111], v[29:30], v[165:166]
	v_fma_f64 v[8:9], v[104:105], v[25:26], -v[167:168]
	v_fma_f64 v[10:11], v[106:107], v[25:26], v[169:170]
	;; [unrolled: 2-line block ×4, first 2 shown]
	v_add_f64 v[151:152], v[100:101], v[128:129]
	v_add_f64 v[157:158], v[128:129], -v[132:133]
	v_add_f64 v[161:162], v[132:133], -v[128:129]
	v_add_f64 v[104:105], v[132:133], v[136:137]
	v_add_f64 v[106:107], v[128:129], v[16:17]
	;; [unrolled: 1-line block ×4, first 2 shown]
	v_add_f64 v[153:154], v[130:131], -v[22:23]
	v_add_f64 v[155:156], v[18:19], -v[20:21]
	v_add_f64 v[134:135], v[116:117], v[120:121]
	v_add_f64 v[165:166], v[102:103], v[130:131]
	;; [unrolled: 1-line block ×3, first 2 shown]
	v_add_f64 v[128:129], v[128:129], -v[16:17]
	v_add_f64 v[140:141], v[118:119], v[122:123]
	v_add_f64 v[142:143], v[114:115], v[126:127]
	v_add_f64 v[167:168], v[132:133], -v[136:137]
	v_add_f64 v[169:170], v[96:97], v[112:113]
	v_add_f64 v[147:148], v[12:13], v[8:9]
	v_add_f64 v[149:150], v[14:15], v[10:11]
	v_add_f64 v[171:172], v[98:99], v[114:115]
	v_add_f64 v[181:182], v[114:115], -v[126:127]
	v_add_f64 v[183:184], v[118:119], -v[122:123]
	;; [unrolled: 1-line block ×18, first 2 shown]
	v_add_f64 v[132:133], v[151:152], v[132:133]
	v_add_f64 v[199:200], v[122:123], -v[126:127]
	v_fma_f64 v[173:174], v[104:105], -0.5, v[100:101]
	v_fma_f64 v[177:178], v[106:107], -0.5, v[100:101]
	;; [unrolled: 1-line block ×4, first 2 shown]
	v_add_f64 v[104:105], v[14:15], -v[10:11]
	v_add_f64 v[106:107], v[12:13], -v[8:9]
	v_fma_f64 v[134:135], v[134:135], -0.5, v[96:97]
	v_add_f64 v[18:19], v[165:166], v[18:19]
	v_fma_f64 v[138:139], v[138:139], -0.5, v[96:97]
	v_add_f64 v[96:97], v[94:95], -v[86:87]
	v_fma_f64 v[140:141], v[140:141], -0.5, v[98:99]
	v_fma_f64 v[142:143], v[142:143], -0.5, v[98:99]
	v_add_f64 v[98:99], v[92:93], -v[84:85]
	v_fma_f64 v[100:101], v[147:148], -0.5, v[88:89]
	v_fma_f64 v[102:103], v[149:150], -0.5, v[90:91]
	v_add_f64 v[147:148], v[20:21], -v[22:23]
	v_add_f64 v[149:150], v[112:113], -v[116:117]
	;; [unrolled: 1-line block ×3, first 2 shown]
	v_add_f64 v[116:117], v[169:170], v[116:117]
	v_add_f64 v[118:119], v[171:172], v[118:119]
	;; [unrolled: 1-line block ×7, first 2 shown]
	v_fma_f64 v[151:152], v[153:154], s[8:9], v[173:174]
	v_fma_f64 v[165:166], v[153:154], s[10:11], v[173:174]
	;; [unrolled: 1-line block ×18, first 2 shown]
	v_add_f64 v[147:148], v[130:131], v[147:148]
	v_add_f64 v[149:150], v[149:150], v[189:190]
	;; [unrolled: 1-line block ×9, first 2 shown]
	v_fma_f64 v[120:121], v[155:156], s[16:17], v[151:152]
	v_fma_f64 v[122:123], v[155:156], s[18:19], v[165:166]
	;; [unrolled: 1-line block ×18, first 2 shown]
	v_add_f64 v[112:113], v[112:113], v[16:17]
	v_add_f64 v[114:115], v[18:19], v[22:23]
	;; [unrolled: 1-line block ×4, first 2 shown]
	v_and_b32_e32 v16, 0xffff, v144
	v_and_b32_e32 v17, 0xffff, v146
	s_delay_alu instid0(VALU_DEP_2) | instskip(NEXT) | instid1(VALU_DEP_2)
	v_mul_u32_u24_e32 v16, 0xaa, v16
	v_mul_u32_u24_e32 v17, 0xaa, v17
	s_delay_alu instid0(VALU_DEP_2)
	v_add_nc_u32_e32 v16, v16, v145
	v_fma_f64 v[120:121], v[157:158], s[20:21], v[120:121]
	v_fma_f64 v[124:125], v[157:158], s[20:21], v[122:123]
	;; [unrolled: 1-line block ×18, first 2 shown]
	v_add_nc_u32_e32 v17, v17, v24
	v_add_lshl_u32 v18, v241, v16, 4
	ds_store_b128 v18, v[112:115]
	ds_store_b128 v18, v[120:123] offset:544
	ds_store_b128 v18, v[128:131] offset:1088
	;; [unrolled: 1-line block ×3, first 2 shown]
	v_add_lshl_u32 v16, v241, v17, 4
	scratch_store_b32 off, v18, off offset:268 ; 4-byte Folded Spill
	ds_store_b128 v18, v[124:127] offset:2176
	ds_store_b128 v16, v[116:119]
	ds_store_b128 v16, v[140:143] offset:544
	ds_store_b128 v16, v[151:154] offset:1088
	;; [unrolled: 1-line block ×3, first 2 shown]
	scratch_store_b32 off, v16, off offset:264 ; 4-byte Folded Spill
	ds_store_b128 v16, v[147:150] offset:2176
	s_and_saveexec_b32 s1, s0
	s_cbranch_execz .LBB0_11
; %bb.10:
	v_add_f64 v[16:17], v[94:95], v[86:87]
	v_add_f64 v[22:23], v[90:91], v[94:95]
	v_mul_f64 v[112:113], v[96:97], s[8:9]
	v_mul_f64 v[20:21], v[98:99], s[8:9]
	v_add_f64 v[94:95], v[14:15], -v[94:95]
	v_add_f64 v[116:117], v[10:11], -v[86:87]
	v_add_f64 v[18:19], v[92:93], v[84:85]
	v_add_f64 v[114:115], v[88:89], v[92:93]
	v_add_f64 v[92:93], v[12:13], -v[92:93]
	v_add_f64 v[118:119], v[8:9], -v[84:85]
	v_fma_f64 v[16:17], v[16:17], -0.5, v[90:91]
	v_add_f64 v[14:15], v[22:23], v[14:15]
	v_add_f64 v[22:23], v[100:101], v[112:113]
	v_mul_f64 v[90:91], v[106:107], s[16:17]
	v_add_f64 v[20:21], v[102:103], -v[20:21]
	v_add_f64 v[94:95], v[94:95], v[116:117]
	v_fma_f64 v[18:19], v[18:19], -0.5, v[88:89]
	v_add_f64 v[12:13], v[114:115], v[12:13]
	v_mul_f64 v[88:89], v[104:105], s[16:17]
	v_add_f64 v[92:93], v[92:93], v[118:119]
	v_fma_f64 v[100:101], v[106:107], s[10:11], v[16:17]
	v_fma_f64 v[16:17], v[106:107], s[8:9], v[16:17]
	v_add_f64 v[14:15], v[14:15], v[10:11]
	v_mul_f64 v[106:107], v[110:111], s[20:21]
	v_add_f64 v[20:21], v[20:21], -v[90:91]
	v_fma_f64 v[102:103], v[104:105], s[10:11], v[18:19]
	v_fma_f64 v[18:19], v[104:105], s[8:9], v[18:19]
	v_add_f64 v[12:13], v[12:13], v[8:9]
	v_mul_f64 v[104:105], v[108:109], s[20:21]
	v_add_f64 v[22:23], v[88:89], v[22:23]
	v_fma_f64 v[88:89], v[98:99], s[16:17], v[100:101]
	v_fma_f64 v[16:17], v[98:99], s[18:19], v[16:17]
	v_add_f64 v[14:15], v[14:15], v[86:87]
	v_add_f64 v[10:11], v[106:107], v[20:21]
	v_fma_f64 v[98:99], v[96:97], s[16:17], v[102:103]
	v_fma_f64 v[18:19], v[96:97], s[18:19], v[18:19]
	v_add_f64 v[12:13], v[12:13], v[84:85]
	v_add_f64 v[8:9], v[104:105], v[22:23]
	v_fma_f64 v[86:87], v[94:95], s[20:21], v[88:89]
	v_fma_f64 v[90:91], v[94:95], s[20:21], v[16:17]
	s_clause 0x1
	scratch_load_b32 v16, off, off offset:4
	scratch_load_b32 v17, off, off offset:8
	v_fma_f64 v[88:89], v[92:93], s[20:21], v[98:99]
	v_fma_f64 v[84:85], v[92:93], s[20:21], v[18:19]
	s_waitcnt vmcnt(1)
	v_and_b32_e32 v16, 0xffff, v16
	s_delay_alu instid0(VALU_DEP_1) | instskip(SKIP_1) | instid1(VALU_DEP_1)
	v_mul_u32_u24_e32 v16, 0xaa, v16
	s_waitcnt vmcnt(0)
	v_add_nc_u32_e32 v16, v16, v17
	s_delay_alu instid0(VALU_DEP_1)
	v_add_lshl_u32 v16, v241, v16, 4
	ds_store_b128 v16, v[12:15]
	ds_store_b128 v16, v[8:11] offset:544
	ds_store_b128 v16, v[88:91] offset:1088
	;; [unrolled: 1-line block ×4, first 2 shown]
.LBB0_11:
	s_or_b32 exec_lo, exec_lo, s1
	v_mad_u64_u32 v[8:9], null, 0x60, v245, s[2:3]
	s_waitcnt lgkmcnt(0)
	s_waitcnt_vscnt null, 0x0
	s_barrier
	buffer_gl0_inv
	s_mov_b32 s2, 0x37e14327
	s_mov_b32 s8, 0x36b3c0b5
	;; [unrolled: 1-line block ×3, first 2 shown]
	v_add_co_u32 v10, s1, 0x1fe0, v8
	s_delay_alu instid0(VALU_DEP_1)
	v_add_co_ci_u32_e64 v11, s1, 0, v9, s1
	s_clause 0x3
	global_load_b128 v[24:27], v[8:9], off offset:2464
	global_load_b128 v[28:31], v[8:9], off offset:2448
	;; [unrolled: 1-line block ×4, first 2 shown]
	s_mov_b32 s16, 0x429ad128
	s_mov_b32 s3, 0x3fe948f6
	s_clause 0x7
	global_load_b128 v[104:107], v[10:11], off offset:2448
	global_load_b128 v[100:103], v[10:11], off offset:2464
	;; [unrolled: 1-line block ×8, first 2 shown]
	ds_load_b128 v[8:11], v255 offset:2720
	ds_load_b128 v[12:15], v255 offset:5440
	;; [unrolled: 1-line block ×12, first 2 shown]
	s_mov_b32 s9, 0x3fac98ee
	s_mov_b32 s11, 0xbfe11646
	;; [unrolled: 1-line block ×9, first 2 shown]
	s_waitcnt vmcnt(7) lgkmcnt(7)
	v_mul_f64 v[186:187], v[144:145], v[106:107]
	v_mul_f64 v[20:21], v[14:15], v[26:27]
	;; [unrolled: 1-line block ×9, first 2 shown]
	s_waitcnt vmcnt(6) lgkmcnt(6)
	v_mul_f64 v[190:191], v[148:149], v[102:103]
	s_waitcnt vmcnt(5) lgkmcnt(5)
	v_mul_f64 v[194:195], v[152:153], v[118:119]
	;; [unrolled: 2-line block ×3, first 2 shown]
	v_mul_f64 v[184:185], v[146:147], v[106:107]
	v_mul_f64 v[188:189], v[150:151], v[102:103]
	;; [unrolled: 1-line block ×4, first 2 shown]
	s_waitcnt vmcnt(3) lgkmcnt(2)
	v_mul_f64 v[201:202], v[166:167], v[126:127]
	v_mul_f64 v[203:204], v[164:165], v[126:127]
	s_waitcnt vmcnt(2)
	v_mul_f64 v[205:206], v[162:163], v[122:123]
	v_mul_f64 v[207:208], v[160:161], v[122:123]
	s_clause 0x3
	scratch_store_b128 off, v[28:31], off offset:248
	scratch_store_b128 off, v[24:27], off offset:232
	;; [unrolled: 1-line block ×4, first 2 shown]
	v_fma_f64 v[146:147], v[146:147], v[104:105], v[186:187]
	v_fma_f64 v[12:13], v[12:13], v[24:25], -v[20:21]
	v_fma_f64 v[8:9], v[8:9], v[28:29], -v[16:17]
	v_fma_f64 v[10:11], v[10:11], v[28:29], v[18:19]
	v_fma_f64 v[14:15], v[14:15], v[24:25], v[22:23]
	v_fma_f64 v[16:17], v[136:137], v[32:33], -v[176:177]
	v_fma_f64 v[18:19], v[138:139], v[32:33], v[178:179]
	v_fma_f64 v[20:21], v[140:141], v[36:37], -v[180:181]
	v_fma_f64 v[22:23], v[142:143], v[36:37], v[182:183]
	s_waitcnt vmcnt(1) lgkmcnt(1)
	v_mul_f64 v[136:137], v[170:171], v[114:115]
	v_mul_f64 v[138:139], v[168:169], v[114:115]
	s_waitcnt vmcnt(0) lgkmcnt(0)
	v_mul_f64 v[140:141], v[174:175], v[110:111]
	v_mul_f64 v[142:143], v[172:173], v[110:111]
	v_fma_f64 v[150:151], v[150:151], v[100:101], v[190:191]
	v_fma_f64 v[154:155], v[154:155], v[116:117], v[194:195]
	;; [unrolled: 1-line block ×3, first 2 shown]
	v_fma_f64 v[144:145], v[144:145], v[104:105], -v[184:185]
	v_fma_f64 v[148:149], v[148:149], v[100:101], -v[188:189]
	;; [unrolled: 1-line block ×5, first 2 shown]
	v_fma_f64 v[166:167], v[166:167], v[124:125], v[203:204]
	v_fma_f64 v[160:161], v[160:161], v[120:121], -v[205:206]
	v_fma_f64 v[162:163], v[162:163], v[120:121], v[207:208]
	v_add_f64 v[176:177], v[8:9], v[16:17]
	v_add_f64 v[178:179], v[10:11], v[18:19]
	;; [unrolled: 1-line block ×4, first 2 shown]
	v_fma_f64 v[136:137], v[168:169], v[112:113], -v[136:137]
	v_fma_f64 v[138:139], v[170:171], v[112:113], v[138:139]
	v_fma_f64 v[140:141], v[172:173], v[108:109], -v[140:141]
	v_fma_f64 v[142:143], v[174:175], v[108:109], v[142:143]
	v_add_f64 v[20:21], v[12:13], -v[20:21]
	v_add_f64 v[170:171], v[146:147], v[154:155]
	v_add_f64 v[174:175], v[150:151], v[158:159]
	v_add_f64 v[22:23], v[14:15], -v[22:23]
	v_add_f64 v[150:151], v[150:151], -v[158:159]
	v_add_f64 v[168:169], v[144:145], v[152:153]
	v_add_f64 v[172:173], v[148:149], v[156:157]
	v_add_f64 v[148:149], v[148:149], -v[156:157]
	;; [unrolled: 4-line block ×3, first 2 shown]
	v_add_f64 v[162:163], v[162:163], -v[166:167]
	v_add_f64 v[16:17], v[8:9], -v[16:17]
	;; [unrolled: 1-line block ×4, first 2 shown]
	ds_load_b128 v[8:11], v255
	ds_load_b128 v[12:15], v255 offset:1360
	v_add_f64 v[164:165], v[180:181], v[176:177]
	v_add_f64 v[166:167], v[182:183], v[178:179]
	;; [unrolled: 1-line block ×4, first 2 shown]
	v_add_f64 v[140:141], v[140:141], -v[136:137]
	v_add_f64 v[142:143], v[142:143], -v[138:139]
	v_add_f64 v[138:139], v[174:175], v[170:171]
	v_add_f64 v[136:137], v[172:173], v[168:169]
	v_add_f64 v[205:206], v[148:149], -v[144:145]
	v_add_f64 v[152:153], v[176:177], -v[184:185]
	;; [unrolled: 1-line block ×12, first 2 shown]
	v_add_f64 v[20:21], v[160:161], v[20:21]
	v_add_f64 v[22:23], v[162:163], v[22:23]
	v_add_f64 v[180:181], v[16:17], -v[160:161]
	v_add_f64 v[182:183], v[18:19], -v[162:163]
	v_add_f64 v[164:165], v[184:185], v[164:165]
	v_add_f64 v[166:167], v[186:187], v[166:167]
	v_add_f64 v[184:185], v[168:169], -v[156:157]
	v_add_f64 v[186:187], v[170:171], -v[158:159]
	;; [unrolled: 1-line block ×4, first 2 shown]
	v_add_f64 v[211:212], v[158:159], v[138:139]
	v_add_f64 v[158:159], v[158:159], -v[174:175]
	v_add_f64 v[148:149], v[140:141], v[148:149]
	v_add_f64 v[150:151], v[142:143], v[150:151]
	;; [unrolled: 1-line block ×3, first 2 shown]
	v_add_f64 v[156:157], v[156:157], -v[172:173]
	v_mul_f64 v[152:153], v[152:153], s[2:3]
	v_mul_f64 v[154:155], v[154:155], s[2:3]
	;; [unrolled: 1-line block ×8, first 2 shown]
	v_add_f64 v[16:17], v[20:21], v[16:17]
	v_add_f64 v[18:19], v[22:23], v[18:19]
	s_waitcnt lgkmcnt(1)
	v_add_f64 v[136:137], v[8:9], v[164:165]
	v_add_f64 v[138:139], v[10:11], v[166:167]
	v_add_f64 v[8:9], v[144:145], -v[140:141]
	v_add_f64 v[10:11], v[146:147], -v[142:143]
	v_mul_f64 v[140:141], v[184:185], s[2:3]
	v_mul_f64 v[142:143], v[186:187], s[2:3]
	;; [unrolled: 1-line block ×4, first 2 shown]
	s_waitcnt lgkmcnt(0)
	v_add_f64 v[162:163], v[14:15], v[211:212]
	v_add_f64 v[14:15], v[174:175], -v[170:171]
	s_mov_b32 s2, 0x5476071b
	v_mul_f64 v[170:171], v[158:159], s[8:9]
	v_add_f64 v[160:161], v[12:13], v[209:210]
	v_add_f64 v[12:13], v[172:173], -v[168:169]
	v_mul_f64 v[168:169], v[156:157], s[8:9]
	v_mul_f64 v[186:187], v[203:204], s[10:11]
	s_mov_b32 s3, 0x3fe77f67
	s_mov_b32 s11, 0xbfe77f67
	s_mov_b32 s10, s2
	v_add_f64 v[20:21], v[148:149], v[144:145]
	v_add_f64 v[22:23], v[150:151], v[146:147]
	v_fma_f64 v[144:145], v[188:189], s[8:9], v[152:153]
	v_fma_f64 v[146:147], v[190:191], s[8:9], v[154:155]
	v_fma_f64 v[148:149], v[176:177], s[2:3], -v[213:214]
	v_fma_f64 v[150:151], v[178:179], s[2:3], -v[215:216]
	v_fma_f64 v[172:173], v[180:181], s[20:21], v[192:193]
	v_fma_f64 v[174:175], v[182:183], s[20:21], v[194:195]
	v_fma_f64 v[188:189], v[197:198], s[16:17], -v[192:193]
	v_fma_f64 v[190:191], v[199:200], s[16:17], -v[194:195]
	;; [unrolled: 1-line block ×3, first 2 shown]
	v_mul_f64 v[203:204], v[207:208], s[16:17]
	v_fma_f64 v[182:183], v[182:183], s[22:23], -v[219:220]
	v_fma_f64 v[154:155], v[178:179], s[10:11], -v[154:155]
	v_fma_f64 v[180:181], v[180:181], s[22:23], -v[217:218]
	v_fma_f64 v[164:165], v[164:165], s[18:19], v[136:137]
	v_fma_f64 v[166:167], v[166:167], s[18:19], v[138:139]
	;; [unrolled: 1-line block ×5, first 2 shown]
	v_fma_f64 v[8:9], v[8:9], s[22:23], -v[201:202]
	v_fma_f64 v[194:195], v[211:212], s[18:19], v[162:163]
	v_fma_f64 v[142:143], v[14:15], s[10:11], -v[142:143]
	v_fma_f64 v[184:185], v[205:206], s[16:17], -v[184:185]
	;; [unrolled: 1-line block ×3, first 2 shown]
	v_fma_f64 v[192:193], v[209:210], s[18:19], v[160:161]
	v_fma_f64 v[140:141], v[12:13], s[10:11], -v[140:141]
	v_fma_f64 v[12:13], v[12:13], s[2:3], -v[168:169]
	s_mov_b32 s2, 0x37c3f68c
	s_mov_b32 s3, 0x3fdc38aa
	v_fma_f64 v[178:179], v[10:11], s[20:21], v[186:187]
	v_fma_f64 v[186:187], v[207:208], s[16:17], -v[186:187]
	v_fma_f64 v[168:169], v[16:17], s[2:3], v[172:173]
	v_fma_f64 v[170:171], v[18:19], s[2:3], v[174:175]
	;; [unrolled: 1-line block ×4, first 2 shown]
	v_fma_f64 v[10:11], v[10:11], s[22:23], -v[203:204]
	v_fma_f64 v[18:19], v[18:19], s[2:3], v[182:183]
	v_fma_f64 v[16:17], v[16:17], s[2:3], v[180:181]
	v_add_f64 v[144:145], v[144:145], v[164:165]
	v_add_f64 v[150:151], v[150:151], v[166:167]
	v_add_f64 v[146:147], v[146:147], v[166:167]
	v_add_f64 v[154:155], v[154:155], v[166:167]
	v_add_f64 v[152:153], v[152:153], v[164:165]
	v_add_f64 v[148:149], v[148:149], v[164:165]
	v_fma_f64 v[197:198], v[20:21], s[2:3], v[176:177]
	v_fma_f64 v[8:9], v[20:21], s[2:3], v[8:9]
	v_add_f64 v[142:143], v[142:143], v[194:195]
	v_fma_f64 v[201:202], v[20:21], s[2:3], v[184:185]
	v_add_f64 v[14:15], v[14:15], v[194:195]
	v_add_f64 v[20:21], v[156:157], v[192:193]
	;; [unrolled: 1-line block ×4, first 2 shown]
	v_fma_f64 v[199:200], v[22:23], s[2:3], v[178:179]
	v_fma_f64 v[203:204], v[22:23], s[2:3], v[186:187]
	;; [unrolled: 1-line block ×3, first 2 shown]
	v_add_f64 v[22:23], v[158:159], v[194:195]
	v_add_f64 v[188:189], v[170:171], v[144:145]
	;; [unrolled: 1-line block ×3, first 2 shown]
	v_add_f64 v[182:183], v[150:151], -v[172:173]
	v_add_f64 v[190:191], v[146:147], -v[168:169]
	v_add_f64 v[192:193], v[18:19], v[152:153]
	v_add_f64 v[194:195], v[154:155], -v[16:17]
	v_add_f64 v[184:185], v[148:149], -v[174:175]
	v_add_f64 v[180:181], v[174:175], v[148:149]
	;; [unrolled: 3-line block ×3, first 2 shown]
	scratch_load_b32 v8, off, off           ; 4-byte Folded Reload
	v_add_f64 v[178:179], v[16:17], v[154:155]
	v_add_f64 v[172:173], v[144:145], -v[170:171]
	v_add_f64 v[174:175], v[168:169], v[146:147]
	v_add_f64 v[158:159], v[201:202], v[14:15]
	v_add_f64 v[154:155], v[14:15], -v[201:202]
	v_add_f64 v[168:169], v[199:200], v[20:21]
	v_add_f64 v[156:157], v[12:13], -v[203:204]
	;; [unrolled: 2-line block ×4, first 2 shown]
	v_add_f64 v[148:149], v[140:141], -v[10:11]
	v_add_f64 v[146:147], v[197:198], v[22:23]
	s_waitcnt vmcnt(0)
	v_lshl_add_u32 v14, v245, 4, v8
	ds_store_b128 v14, v[136:139]
	ds_store_b128 v14, v[160:163] offset:1360
	ds_store_b128 v14, v[188:191] offset:2720
	;; [unrolled: 1-line block ×13, first 2 shown]
	s_waitcnt lgkmcnt(0)
	s_waitcnt_vscnt null, 0x0
	s_barrier
	buffer_gl0_inv
	s_and_saveexec_b32 s2, vcc_lo
	s_cbranch_execz .LBB0_13
; %bb.12:
	v_add_co_u32 v8, s1, s12, v244
	s_delay_alu instid0(VALU_DEP_1) | instskip(SKIP_1) | instid1(VALU_DEP_3)
	v_add_co_ci_u32_e64 v9, null, s13, 0, s1
	v_dual_mov_b32 v23, v244 :: v_dual_mov_b32 v24, v245
	v_add_co_u32 v10, s1, 0x4000, v8
	s_delay_alu instid0(VALU_DEP_1) | instskip(SKIP_1) | instid1(VALU_DEP_1)
	v_add_co_ci_u32_e64 v11, s1, 0, v9, s1
	v_add_co_u32 v15, s1, 0x4a60, v8
	v_add_co_ci_u32_e64 v16, s1, 0, v9, s1
	s_clause 0x3
	global_load_b128 v[10:13], v[10:11], off offset:2656
	global_load_b128 v[140:143], v[15:16], off offset:1120
	;; [unrolled: 1-line block ×4, first 2 shown]
	v_add_co_u32 v15, s1, 0x5000, v8
	s_delay_alu instid0(VALU_DEP_1)
	v_add_co_ci_u32_e64 v16, s1, 0, v9, s1
	ds_load_b128 v[209:212], v14
	ds_load_b128 v[213:216], v14 offset:5600
	v_add_co_u32 v19, s1, 0x6000, v8
	global_load_b128 v[205:208], v[15:16], off offset:3040
	v_add_co_ci_u32_e64 v20, s1, 0, v9, s1
	ds_load_b128 v[233:236], v14 offset:11200
	ds_load_b128 v[237:240], v14 offset:12320
	ds_load_b128 v[241:244], v14 offset:13440
	ds_load_b128 v[245:248], v14 offset:14560
	ds_load_b128 v[249:252], v14 offset:15680
	ds_load_b128 v[217:220], v14 offset:6720
	ds_load_b128 v[221:224], v14 offset:7840
	ds_load_b128 v[225:228], v14 offset:8960
	ds_load_b128 v[229:232], v14 offset:10080
	s_waitcnt vmcnt(4) lgkmcnt(10)
	v_mul_f64 v[15:16], v[211:212], v[12:13]
	v_mul_f64 v[12:13], v[209:210], v[12:13]
	s_delay_alu instid0(VALU_DEP_2) | instskip(NEXT) | instid1(VALU_DEP_2)
	v_fma_f64 v[209:210], v[209:210], v[10:11], -v[15:16]
	v_fma_f64 v[211:212], v[211:212], v[10:11], v[12:13]
	ds_load_b128 v[10:13], v14 offset:1120
	s_waitcnt vmcnt(3) lgkmcnt(0)
	v_mul_f64 v[15:16], v[12:13], v[142:143]
	v_mul_f64 v[17:18], v[10:11], v[142:143]
	s_delay_alu instid0(VALU_DEP_2) | instskip(NEXT) | instid1(VALU_DEP_2)
	v_fma_f64 v[10:11], v[10:11], v[140:141], -v[15:16]
	v_fma_f64 v[12:13], v[12:13], v[140:141], v[17:18]
	ds_load_b128 v[140:143], v14 offset:2240
	s_waitcnt vmcnt(2) lgkmcnt(0)
	v_mul_f64 v[15:16], v[142:143], v[199:200]
	v_mul_f64 v[17:18], v[140:141], v[199:200]
	s_delay_alu instid0(VALU_DEP_2) | instskip(NEXT) | instid1(VALU_DEP_2)
	v_fma_f64 v[140:141], v[140:141], v[197:198], -v[15:16]
	v_fma_f64 v[142:143], v[142:143], v[197:198], v[17:18]
	ds_load_b128 v[197:200], v14 offset:3360
	s_waitcnt vmcnt(1) lgkmcnt(0)
	v_mul_f64 v[15:16], v[199:200], v[203:204]
	v_mul_f64 v[17:18], v[197:198], v[203:204]
	s_delay_alu instid0(VALU_DEP_2) | instskip(NEXT) | instid1(VALU_DEP_2)
	v_fma_f64 v[197:198], v[197:198], v[201:202], -v[15:16]
	v_fma_f64 v[199:200], v[199:200], v[201:202], v[17:18]
	ds_load_b128 v[201:204], v14 offset:4480
	s_waitcnt vmcnt(0) lgkmcnt(0)
	v_mul_f64 v[15:16], v[203:204], v[207:208]
	v_mul_f64 v[17:18], v[201:202], v[207:208]
	s_delay_alu instid0(VALU_DEP_2) | instskip(NEXT) | instid1(VALU_DEP_2)
	v_fma_f64 v[201:202], v[201:202], v[205:206], -v[15:16]
	v_fma_f64 v[203:204], v[203:204], v[205:206], v[17:18]
	global_load_b128 v[205:208], v[19:20], off offset:64
	s_waitcnt vmcnt(0)
	v_mul_f64 v[15:16], v[215:216], v[207:208]
	v_mul_f64 v[17:18], v[213:214], v[207:208]
	s_delay_alu instid0(VALU_DEP_2) | instskip(NEXT) | instid1(VALU_DEP_2)
	v_fma_f64 v[213:214], v[213:214], v[205:206], -v[15:16]
	v_fma_f64 v[215:216], v[215:216], v[205:206], v[17:18]
	global_load_b128 v[205:208], v[19:20], off offset:1184
	s_waitcnt vmcnt(0)
	;; [unrolled: 7-line block ×4, first 2 shown]
	v_mul_f64 v[15:16], v[227:228], v[207:208]
	v_mul_f64 v[17:18], v[225:226], v[207:208]
	s_delay_alu instid0(VALU_DEP_2) | instskip(SKIP_1) | instid1(VALU_DEP_1)
	v_fma_f64 v[225:226], v[225:226], v[205:206], -v[15:16]
	v_add_co_u32 v15, s1, 0x7000, v8
	v_add_co_ci_u32_e64 v16, s1, 0, v9, s1
	s_delay_alu instid0(VALU_DEP_4) | instskip(SKIP_4) | instid1(VALU_DEP_2)
	v_fma_f64 v[227:228], v[227:228], v[205:206], v[17:18]
	global_load_b128 v[205:208], v[15:16], off offset:448
	s_waitcnt vmcnt(0)
	v_mul_f64 v[17:18], v[231:232], v[207:208]
	v_mul_f64 v[19:20], v[229:230], v[207:208]
	v_fma_f64 v[229:230], v[229:230], v[205:206], -v[17:18]
	s_delay_alu instid0(VALU_DEP_2) | instskip(SKIP_4) | instid1(VALU_DEP_2)
	v_fma_f64 v[231:232], v[231:232], v[205:206], v[19:20]
	global_load_b128 v[205:208], v[15:16], off offset:1568
	s_waitcnt vmcnt(0)
	v_mul_f64 v[17:18], v[235:236], v[207:208]
	v_mul_f64 v[19:20], v[233:234], v[207:208]
	v_fma_f64 v[233:234], v[233:234], v[205:206], -v[17:18]
	s_delay_alu instid0(VALU_DEP_2) | instskip(SKIP_4) | instid1(VALU_DEP_2)
	;; [unrolled: 7-line block ×3, first 2 shown]
	v_fma_f64 v[239:240], v[239:240], v[205:206], v[19:20]
	global_load_b128 v[205:208], v[15:16], off offset:3808
	s_waitcnt vmcnt(0)
	v_mul_f64 v[15:16], v[243:244], v[207:208]
	v_mul_f64 v[17:18], v[241:242], v[207:208]
	v_fma_f64 v[241:242], v[241:242], v[205:206], -v[15:16]
	v_add_co_u32 v15, s1, 0x8000, v8
	s_delay_alu instid0(VALU_DEP_1) | instskip(NEXT) | instid1(VALU_DEP_4)
	v_add_co_ci_u32_e64 v16, s1, 0, v9, s1
	v_fma_f64 v[243:244], v[243:244], v[205:206], v[17:18]
	v_add_co_u32 v8, s1, 0x9000, v8
	global_load_b128 v[205:208], v[15:16], off offset:832
	v_add_co_ci_u32_e64 v9, s1, 0, v9, s1
	s_waitcnt vmcnt(0)
	v_mul_f64 v[17:18], v[247:248], v[207:208]
	v_mul_f64 v[19:20], v[245:246], v[207:208]
	s_delay_alu instid0(VALU_DEP_2) | instskip(NEXT) | instid1(VALU_DEP_2)
	v_fma_f64 v[245:246], v[245:246], v[205:206], -v[17:18]
	v_fma_f64 v[247:248], v[247:248], v[205:206], v[19:20]
	global_load_b128 v[205:208], v[15:16], off offset:1952
	s_waitcnt vmcnt(0)
	v_mul_f64 v[17:18], v[251:252], v[207:208]
	v_mul_f64 v[19:20], v[249:250], v[207:208]
	s_delay_alu instid0(VALU_DEP_2) | instskip(NEXT) | instid1(VALU_DEP_2)
	v_fma_f64 v[249:250], v[249:250], v[205:206], -v[17:18]
	v_fma_f64 v[251:252], v[251:252], v[205:206], v[19:20]
	global_load_b128 v[205:208], v[15:16], off offset:3072
	ds_load_b128 v[15:18], v14 offset:16800
	s_waitcnt vmcnt(0) lgkmcnt(0)
	v_mul_f64 v[19:20], v[17:18], v[207:208]
	v_mul_f64 v[21:22], v[15:16], v[207:208]
	s_delay_alu instid0(VALU_DEP_2) | instskip(NEXT) | instid1(VALU_DEP_2)
	v_fma_f64 v[15:16], v[15:16], v[205:206], -v[19:20]
	v_fma_f64 v[17:18], v[17:18], v[205:206], v[21:22]
	global_load_b128 v[205:208], v[8:9], off offset:96
	ds_load_b128 v[19:22], v14 offset:17920
	ds_store_b128 v14, v[209:212]
	ds_store_b128 v14, v[10:13] offset:1120
	ds_store_b128 v14, v[140:143] offset:2240
	;; [unrolled: 1-line block ×12, first 2 shown]
	v_mov_b32_e32 v244, v23
	ds_store_b128 v14, v[245:248] offset:14560
	v_mov_b32_e32 v245, v24
	s_waitcnt vmcnt(0) lgkmcnt(14)
	v_mul_f64 v[8:9], v[21:22], v[207:208]
	v_mul_f64 v[207:208], v[19:20], v[207:208]
	s_delay_alu instid0(VALU_DEP_2) | instskip(NEXT) | instid1(VALU_DEP_2)
	v_fma_f64 v[19:20], v[19:20], v[205:206], -v[8:9]
	v_fma_f64 v[21:22], v[21:22], v[205:206], v[207:208]
	ds_store_b128 v14, v[249:252] offset:15680
	ds_store_b128 v14, v[15:18] offset:16800
	;; [unrolled: 1-line block ×3, first 2 shown]
.LBB0_13:
	s_or_b32 exec_lo, exec_lo, s2
	s_waitcnt lgkmcnt(0)
	s_barrier
	buffer_gl0_inv
	s_and_saveexec_b32 s1, vcc_lo
	s_cbranch_execz .LBB0_15
; %bb.14:
	ds_load_b128 v[136:139], v14
	ds_load_b128 v[188:191], v14 offset:1120
	ds_load_b128 v[192:195], v14 offset:2240
	;; [unrolled: 1-line block ×16, first 2 shown]
.LBB0_15:
	s_or_b32 exec_lo, exec_lo, s1
	s_waitcnt lgkmcnt(0)
	v_add_f64 v[8:9], v[190:191], -v[2:3]
	s_mov_b32 s16, 0x7c9e640b
	s_mov_b32 s17, 0xbfeca52d
	v_add_f64 v[253:254], v[188:189], v[0:1]
	v_add_f64 v[59:60], v[194:195], -v[6:7]
	s_mov_b32 s2, 0x2b2883cd
	s_mov_b32 s18, 0x6c9a05f6
	;; [unrolled: 1-line block ×4, first 2 shown]
	v_add_f64 v[197:198], v[192:193], v[4:5]
	s_mov_b32 s8, 0x6ed5f1bb
	s_mov_b32 s9, 0xbfe348c8
	v_add_f64 v[199:200], v[194:195], v[6:7]
	v_add_f64 v[63:64], v[192:193], -v[4:5]
	v_add_f64 v[61:62], v[186:187], -v[134:135]
	s_mov_b32 s25, 0x3fc7851a
	s_mov_b32 s24, 0xacd6c6b4
	v_add_f64 v[201:202], v[184:185], v[132:133]
	v_add_f64 v[203:204], v[186:187], v[134:135]
	s_mov_b32 s10, 0x7faef3
	s_mov_b32 s11, 0xbfef7484
	v_add_f64 v[67:68], v[184:185], -v[132:133]
	v_add_f64 v[65:66], v[182:183], -v[146:147]
	s_mov_b32 s34, 0x923c349f
	s_mov_b32 s35, 0x3feec746
	v_add_f64 v[205:206], v[180:181], v[144:145]
	v_add_f64 v[207:208], v[182:183], v[146:147]
	s_mov_b32 s20, 0xc61f0d01
	s_mov_b32 s21, 0xbfd183b1
	;; [unrolled: 8-line block ×3, first 2 shown]
	v_add_f64 v[27:28], v[176:177], -v[148:149]
	v_mul_f64 v[21:22], v[8:9], s[16:17]
	v_add_f64 v[25:26], v[174:175], -v[154:155]
	s_mov_b32 s38, 0x5d8e7cdc
	s_mov_b32 s39, 0xbfd71e95
	v_mul_f64 v[39:40], v[59:60], s[18:19]
	v_add_f64 v[215:216], v[172:173], v[152:153]
	v_add_f64 v[221:222], v[174:175], v[154:155]
	s_mov_b32 s26, 0x370991
	s_mov_b32 s27, 0x3fedd6d0
	v_add_f64 v[29:30], v[172:173], -v[152:153]
	v_add_f64 v[95:96], v[162:163], -v[158:159]
	s_mov_b32 s42, 0xeb564b22
	v_mul_f64 v[41:42], v[199:200], s[8:9]
	s_mov_b32 s43, 0xbfefdd0d
	v_mul_f64 v[43:44], v[61:62], s[24:25]
	v_add_f64 v[223:224], v[160:161], v[156:157]
	v_add_f64 v[225:226], v[162:163], v[158:159]
	s_mov_b32 s28, 0x3259b75e
	v_mul_f64 v[45:46], v[203:204], s[10:11]
	s_mov_b32 s29, 0x3fb79ee6
	v_add_f64 v[37:38], v[160:161], -v[156:157]
	v_add_f64 v[31:32], v[170:171], -v[166:167]
	v_mul_f64 v[47:48], v[65:66], s[34:35]
	s_mov_b32 s40, 0x4363dd80
	s_mov_b32 s41, 0xbfe0d888
	v_add_f64 v[227:228], v[168:169], v[164:165]
	v_mul_f64 v[49:50], v[207:208], s[20:21]
	v_add_f64 v[229:230], v[170:171], v[166:167]
	v_add_f64 v[35:36], v[168:169], -v[164:165]
	v_mul_f64 v[51:52], v[69:70], s[36:37]
	s_barrier
	buffer_gl0_inv
	v_mul_f64 v[55:56], v[213:214], s[22:23]
	v_fma_f64 v[10:11], v[253:254], s[2:3], -v[21:22]
	v_mul_f64 v[53:54], v[25:26], s[38:39]
	v_fma_f64 v[12:13], v[197:198], s[8:9], -v[39:40]
	v_mul_f64 v[71:72], v[221:222], s[26:27]
	v_mul_f64 v[57:58], v[95:96], s[42:43]
	v_fma_f64 v[19:20], v[63:64], s[18:19], v[41:42]
	v_mul_f64 v[87:88], v[225:226], s[28:29]
	v_mul_f64 v[73:74], v[31:32], s[40:41]
	;; [unrolled: 1-line block ×3, first 2 shown]
	v_add_f64 v[10:11], v[136:137], v[10:11]
	s_delay_alu instid0(VALU_DEP_1) | instskip(SKIP_2) | instid1(VALU_DEP_2)
	v_add_f64 v[15:16], v[12:13], v[10:11]
	v_add_f64 v[10:11], v[190:191], v[2:3]
	v_add_f64 v[12:13], v[188:189], -v[0:1]
	v_mul_f64 v[84:85], v[10:11], s[2:3]
	s_delay_alu instid0(VALU_DEP_1) | instskip(NEXT) | instid1(VALU_DEP_1)
	v_fma_f64 v[17:18], v[12:13], s[16:17], v[84:85]
	v_add_f64 v[17:18], v[138:139], v[17:18]
	s_delay_alu instid0(VALU_DEP_1) | instskip(SKIP_1) | instid1(VALU_DEP_1)
	v_add_f64 v[17:18], v[19:20], v[17:18]
	v_fma_f64 v[19:20], v[201:202], s[10:11], -v[43:44]
	v_add_f64 v[15:16], v[19:20], v[15:16]
	v_fma_f64 v[19:20], v[67:68], s[24:25], v[45:46]
	s_delay_alu instid0(VALU_DEP_1) | instskip(SKIP_1) | instid1(VALU_DEP_1)
	v_add_f64 v[17:18], v[19:20], v[17:18]
	v_fma_f64 v[19:20], v[205:206], s[20:21], -v[47:48]
	v_add_f64 v[15:16], v[19:20], v[15:16]
	v_fma_f64 v[19:20], v[23:24], s[34:35], v[49:50]
	;; [unrolled: 5-line block ×6, first 2 shown]
	s_delay_alu instid0(VALU_DEP_1)
	v_add_f64 v[142:143], v[15:16], v[17:18]
	s_and_saveexec_b32 s1, vcc_lo
	s_cbranch_execz .LBB0_17
; %bb.16:
	v_add_f64 v[15:16], v[138:139], v[190:191]
	v_add_f64 v[17:18], v[136:137], v[188:189]
	v_mul_f64 v[19:20], v[67:68], s[24:25]
	s_mov_b32 s25, 0xbfc7851a
	s_mov_b32 s45, 0xbfeec746
	;; [unrolled: 1-line block ×8, first 2 shown]
	v_mul_f64 v[211:212], v[35:36], s[44:45]
	v_mul_f64 v[217:218], v[31:32], s[44:45]
	;; [unrolled: 1-line block ×11, first 2 shown]
	s_mov_b32 s50, s38
	v_mul_f64 v[251:252], v[27:28], s[16:17]
	v_mul_f64 v[249:250], v[65:66], s[50:51]
	;; [unrolled: 1-line block ×4, first 2 shown]
	v_add_f64 v[15:16], v[15:16], v[194:195]
	v_add_f64 v[17:18], v[17:18], v[192:193]
	v_add_f64 v[19:20], v[45:46], -v[19:20]
	v_fma_f64 v[33:34], v[223:224], s[8:9], v[93:94]
	s_delay_alu instid0(VALU_DEP_4) | instskip(NEXT) | instid1(VALU_DEP_4)
	v_add_f64 v[15:16], v[15:16], v[186:187]
	v_add_f64 v[17:18], v[17:18], v[184:185]
	s_delay_alu instid0(VALU_DEP_2) | instskip(NEXT) | instid1(VALU_DEP_2)
	v_add_f64 v[15:16], v[15:16], v[182:183]
	v_add_f64 v[17:18], v[17:18], v[180:181]
	s_delay_alu instid0(VALU_DEP_2) | instskip(NEXT) | instid1(VALU_DEP_2)
	;; [unrolled: 3-line block ×4, first 2 shown]
	v_add_f64 v[15:16], v[15:16], v[162:163]
	v_add_f64 v[17:18], v[17:18], v[160:161]
	v_mul_f64 v[160:161], v[8:9], s[18:19]
	v_mul_f64 v[162:163], v[8:9], s[42:43]
	s_delay_alu instid0(VALU_DEP_4) | instskip(NEXT) | instid1(VALU_DEP_4)
	v_add_f64 v[15:16], v[15:16], v[170:171]
	v_add_f64 v[17:18], v[17:18], v[168:169]
	v_mul_f64 v[168:169], v[8:9], s[44:45]
	v_fma_f64 v[172:173], v[253:254], s[8:9], -v[160:161]
	v_fma_f64 v[160:161], v[253:254], s[8:9], v[160:161]
	v_fma_f64 v[174:175], v[253:254], s[28:29], -v[162:163]
	v_fma_f64 v[162:163], v[253:254], s[28:29], v[162:163]
	v_add_f64 v[15:16], v[15:16], v[166:167]
	v_add_f64 v[17:18], v[17:18], v[164:165]
	v_mul_f64 v[164:165], v[8:9], s[38:39]
	v_mul_f64 v[166:167], v[8:9], s[24:25]
	v_fma_f64 v[180:181], v[253:254], s[20:21], -v[168:169]
	v_fma_f64 v[168:169], v[253:254], s[20:21], v[168:169]
	v_add_f64 v[172:173], v[136:137], v[172:173]
	v_add_f64 v[160:161], v[136:137], v[160:161]
	;; [unrolled: 1-line block ×6, first 2 shown]
	v_fma_f64 v[176:177], v[253:254], s[26:27], -v[164:165]
	v_fma_f64 v[164:165], v[253:254], s[26:27], v[164:165]
	v_fma_f64 v[178:179], v[253:254], s[10:11], -v[166:167]
	v_fma_f64 v[166:167], v[253:254], s[10:11], v[166:167]
	v_add_f64 v[168:169], v[136:137], v[168:169]
	v_add_f64 v[15:16], v[15:16], v[154:155]
	;; [unrolled: 1-line block ×3, first 2 shown]
	s_delay_alu instid0(VALU_DEP_4) | instskip(NEXT) | instid1(VALU_DEP_3)
	v_add_f64 v[166:167], v[136:137], v[166:167]
	v_add_f64 v[15:16], v[15:16], v[150:151]
	s_delay_alu instid0(VALU_DEP_3) | instskip(NEXT) | instid1(VALU_DEP_2)
	v_add_f64 v[17:18], v[17:18], v[148:149]
	v_add_f64 v[15:16], v[15:16], v[146:147]
	s_delay_alu instid0(VALU_DEP_2) | instskip(SKIP_1) | instid1(VALU_DEP_3)
	v_add_f64 v[17:18], v[17:18], v[144:145]
	v_mul_f64 v[144:145], v[12:13], s[44:45]
	v_add_f64 v[15:16], v[15:16], v[134:135]
	s_delay_alu instid0(VALU_DEP_3)
	v_add_f64 v[17:18], v[17:18], v[132:133]
	v_mul_f64 v[132:133], v[12:13], s[38:39]
	v_mul_f64 v[134:135], v[12:13], s[24:25]
	v_fma_f64 v[156:157], v[10:11], s[20:21], v[144:145]
	v_fma_f64 v[144:145], v[10:11], s[20:21], -v[144:145]
	v_add_f64 v[6:7], v[15:16], v[6:7]
	v_add_f64 v[4:5], v[17:18], v[4:5]
	v_fma_f64 v[152:153], v[10:11], s[26:27], v[132:133]
	v_mul_f64 v[15:16], v[12:13], s[40:41]
	v_mul_f64 v[17:18], v[12:13], s[18:19]
	v_fma_f64 v[132:133], v[10:11], s[26:27], -v[132:133]
	v_fma_f64 v[154:155], v[10:11], s[10:11], v[134:135]
	v_fma_f64 v[134:135], v[10:11], s[10:11], -v[134:135]
	v_add_f64 v[194:195], v[138:139], v[144:145]
	v_add_f64 v[2:3], v[6:7], v[2:3]
	v_mul_f64 v[6:7], v[253:254], s[2:3]
	v_add_f64 v[0:1], v[4:5], v[0:1]
	v_mul_f64 v[4:5], v[12:13], s[16:17]
	v_fma_f64 v[146:147], v[10:11], s[30:31], v[15:16]
	v_fma_f64 v[15:16], v[10:11], s[30:31], -v[15:16]
	v_fma_f64 v[148:149], v[10:11], s[8:9], v[17:18]
	v_fma_f64 v[17:18], v[10:11], s[8:9], -v[17:18]
	v_add_f64 v[154:155], v[138:139], v[154:155]
	v_add_f64 v[6:7], v[6:7], v[21:22]
	v_mul_f64 v[21:22], v[12:13], s[42:43]
	scratch_store_b128 off, v[0:3], off offset:380 ; 16-byte Folded Spill
	v_mul_f64 v[12:13], v[12:13], s[48:49]
	v_add_f64 v[4:5], v[84:85], -v[4:5]
	v_add_f64 v[146:147], v[138:139], v[146:147]
	v_add_f64 v[188:189], v[138:139], v[17:18]
	v_add_f64 v[17:18], v[138:139], v[132:133]
	v_mul_f64 v[132:133], v[63:64], s[46:47]
	v_add_f64 v[85:86], v[136:137], v[180:181]
	v_add_f64 v[15:16], v[138:139], v[15:16]
	;; [unrolled: 1-line block ×3, first 2 shown]
	v_mov_b32_e32 v84, v196
	v_add_f64 v[192:193], v[136:137], v[6:7]
	v_fma_f64 v[150:151], v[10:11], s[28:29], v[21:22]
	v_fma_f64 v[21:22], v[10:11], s[28:29], -v[21:22]
	v_fma_f64 v[158:159], v[10:11], s[22:23], v[12:13]
	v_fma_f64 v[12:13], v[10:11], s[22:23], -v[12:13]
	v_mul_f64 v[10:11], v[8:9], s[40:41]
	v_mul_f64 v[8:9], v[8:9], s[48:49]
	v_add_f64 v[0:1], v[138:139], v[150:151]
	v_add_f64 v[150:151], v[138:139], v[21:22]
	v_add_f64 v[21:22], v[138:139], v[4:5]
	v_fma_f64 v[4:5], v[199:200], s[2:3], v[132:133]
	v_fma_f64 v[170:171], v[253:254], s[30:31], -v[10:11]
	v_fma_f64 v[10:11], v[253:254], s[30:31], v[10:11]
	v_fma_f64 v[182:183], v[253:254], s[22:23], -v[8:9]
	v_fma_f64 v[184:185], v[253:254], s[22:23], v[8:9]
	v_add_f64 v[12:13], v[138:139], v[12:13]
	v_fma_f64 v[132:133], v[199:200], s[2:3], -v[132:133]
	scratch_store_b64 off, v[0:1], off offset:428 ; 8-byte Folded Spill
	v_add_f64 v[0:1], v[138:139], v[152:153]
	v_add_f64 v[152:153], v[136:137], v[164:165]
	;; [unrolled: 1-line block ×9, first 2 shown]
	scratch_store_b64 off, v[0:1], off offset:404 ; 8-byte Folded Spill
	v_add_f64 v[0:1], v[136:137], v[176:177]
	v_add_f64 v[176:177], v[138:139], v[134:135]
	v_mul_f64 v[134:135], v[59:60], s[46:47]
	scratch_store_b64 off, v[0:1], off offset:396 ; 8-byte Folded Spill
	v_add_f64 v[0:1], v[138:139], v[158:159]
	v_fma_f64 v[6:7], v[197:198], s[2:3], -v[134:135]
	v_fma_f64 v[132:133], v[197:198], s[2:3], v[134:135]
	scratch_store_b64 off, v[0:1], off offset:420 ; 8-byte Folded Spill
	v_add_f64 v[0:1], v[136:137], v[182:183]
	v_mul_f64 v[136:137], v[67:68], s[42:43]
	v_add_f64 v[6:7], v[6:7], v[170:171]
	v_add_f64 v[132:133], v[132:133], v[186:187]
	v_mul_f64 v[186:187], v[67:68], s[16:17]
	scratch_store_b64 off, v[0:1], off offset:412 ; 8-byte Folded Spill
	v_fma_f64 v[138:139], v[203:204], s[28:29], v[136:137]
	v_fma_f64 v[134:135], v[203:204], s[28:29], -v[136:137]
	v_mul_f64 v[0:1], v[59:60], s[24:25]
	s_delay_alu instid0(VALU_DEP_3) | instskip(SKIP_1) | instid1(VALU_DEP_4)
	v_add_f64 v[4:5], v[138:139], v[4:5]
	v_mul_f64 v[138:139], v[61:62], s[42:43]
	v_add_f64 v[15:16], v[134:135], v[15:16]
	s_delay_alu instid0(VALU_DEP_4) | instskip(SKIP_1) | instid1(VALU_DEP_4)
	v_fma_f64 v[2:3], v[197:198], s[10:11], v[0:1]
	v_fma_f64 v[0:1], v[197:198], s[10:11], -v[0:1]
	v_fma_f64 v[144:145], v[201:202], s[28:29], -v[138:139]
	v_fma_f64 v[134:135], v[201:202], s[28:29], v[138:139]
	v_mul_f64 v[138:139], v[197:198], s[8:9]
	v_add_f64 v[2:3], v[2:3], v[162:163]
	v_add_f64 v[0:1], v[0:1], v[174:175]
	;; [unrolled: 1-line block ×3, first 2 shown]
	v_mul_f64 v[144:145], v[23:24], s[52:53]
	v_add_f64 v[132:133], v[134:135], v[132:133]
	v_add_f64 v[138:139], v[138:139], v[39:40]
	s_delay_alu instid0(VALU_DEP_3) | instskip(SKIP_2) | instid1(VALU_DEP_3)
	v_fma_f64 v[146:147], v[207:208], s[8:9], v[144:145]
	v_fma_f64 v[134:135], v[207:208], s[8:9], -v[144:145]
	v_mul_f64 v[144:145], v[201:202], s[10:11]
	v_add_f64 v[4:5], v[146:147], v[4:5]
	v_mul_f64 v[146:147], v[65:66], s[52:53]
	s_delay_alu instid0(VALU_DEP_4) | instskip(NEXT) | instid1(VALU_DEP_4)
	v_add_f64 v[15:16], v[134:135], v[15:16]
	v_add_f64 v[144:145], v[144:145], v[43:44]
	s_delay_alu instid0(VALU_DEP_3) | instskip(SKIP_2) | instid1(VALU_DEP_3)
	v_fma_f64 v[156:157], v[205:206], s[8:9], -v[146:147]
	v_fma_f64 v[134:135], v[205:206], s[8:9], v[146:147]
	v_mul_f64 v[146:147], v[23:24], s[34:35]
	v_add_f64 v[6:7], v[156:157], v[6:7]
	v_mul_f64 v[156:157], v[27:28], s[38:39]
	s_delay_alu instid0(VALU_DEP_4) | instskip(NEXT) | instid1(VALU_DEP_4)
	v_add_f64 v[132:133], v[134:135], v[132:133]
	v_add_f64 v[146:147], v[49:50], -v[146:147]
	s_delay_alu instid0(VALU_DEP_3) | instskip(SKIP_2) | instid1(VALU_DEP_3)
	v_fma_f64 v[158:159], v[213:214], s[26:27], v[156:157]
	v_fma_f64 v[134:135], v[213:214], s[26:27], -v[156:157]
	v_mul_f64 v[156:157], v[27:28], s[36:37]
	v_add_f64 v[4:5], v[158:159], v[4:5]
	v_mul_f64 v[158:159], v[69:70], s[38:39]
	s_delay_alu instid0(VALU_DEP_4) | instskip(NEXT) | instid1(VALU_DEP_4)
	v_add_f64 v[15:16], v[134:135], v[15:16]
	v_add_f64 v[156:157], v[55:56], -v[156:157]
	v_mul_f64 v[55:56], v[35:36], s[50:51]
	s_delay_alu instid0(VALU_DEP_4) | instskip(SKIP_2) | instid1(VALU_DEP_3)
	v_fma_f64 v[170:171], v[209:210], s[26:27], -v[158:159]
	v_fma_f64 v[134:135], v[209:210], s[26:27], v[158:159]
	v_mul_f64 v[158:159], v[209:210], s[22:23]
	v_add_f64 v[6:7], v[170:171], v[6:7]
	v_mul_f64 v[170:171], v[29:30], s[24:25]
	s_delay_alu instid0(VALU_DEP_4) | instskip(NEXT) | instid1(VALU_DEP_4)
	v_add_f64 v[132:133], v[134:135], v[132:133]
	v_add_f64 v[158:159], v[158:159], v[51:52]
	s_delay_alu instid0(VALU_DEP_3) | instskip(SKIP_2) | instid1(VALU_DEP_3)
	v_fma_f64 v[8:9], v[221:222], s[10:11], v[170:171]
	v_fma_f64 v[134:135], v[221:222], s[10:11], -v[170:171]
	v_mul_f64 v[170:171], v[29:30], s[38:39]
	v_add_f64 v[4:5], v[8:9], v[4:5]
	v_mul_f64 v[8:9], v[25:26], s[24:25]
	s_delay_alu instid0(VALU_DEP_4) | instskip(NEXT) | instid1(VALU_DEP_4)
	v_add_f64 v[15:16], v[134:135], v[15:16]
	v_add_f64 v[170:171], v[71:72], -v[170:171]
	v_dual_mov_b32 v72, v30 :: v_dual_mov_b32 v71, v29
	s_delay_alu instid0(VALU_DEP_4) | instskip(SKIP_1) | instid1(VALU_DEP_2)
	v_fma_f64 v[10:11], v[215:216], s[10:11], -v[8:9]
	v_fma_f64 v[8:9], v[215:216], s[10:11], v[8:9]
	v_add_f64 v[6:7], v[10:11], v[6:7]
	v_mul_f64 v[10:11], v[37:38], s[36:37]
	s_delay_alu instid0(VALU_DEP_3) | instskip(SKIP_1) | instid1(VALU_DEP_3)
	v_add_f64 v[8:9], v[8:9], v[132:133]
	v_fma_f64 v[132:133], v[227:228], s[20:21], v[217:218]
	v_fma_f64 v[182:183], v[225:226], s[22:23], v[10:11]
	v_fma_f64 v[10:11], v[225:226], s[22:23], -v[10:11]
	s_delay_alu instid0(VALU_DEP_2) | instskip(SKIP_1) | instid1(VALU_DEP_3)
	v_add_f64 v[4:5], v[182:183], v[4:5]
	v_mul_f64 v[182:183], v[95:96], s[36:37]
	v_add_f64 v[10:11], v[10:11], v[15:16]
	s_delay_alu instid0(VALU_DEP_2)
	v_fma_f64 v[15:16], v[223:224], s[22:23], v[182:183]
	v_fma_f64 v[253:254], v[223:224], s[22:23], -v[182:183]
	v_dual_mov_b32 v183, v79 :: v_dual_mov_b32 v182, v78
	v_dual_mov_b32 v181, v77 :: v_dual_mov_b32 v180, v76
	v_mov_b32_e32 v79, v244
	v_mul_f64 v[243:244], v[25:26], s[18:19]
	v_dual_mov_b32 v77, v24 :: v_dual_mov_b32 v76, v23
	v_add_f64 v[8:9], v[15:16], v[8:9]
	v_fma_f64 v[15:16], v[229:230], s[20:21], -v[211:212]
	v_add_f64 v[253:254], v[253:254], v[6:7]
	v_fma_f64 v[6:7], v[229:230], s[20:21], v[211:212]
	v_mul_f64 v[211:212], v[61:62], s[16:17]
	v_add_f64 v[132:133], v[132:133], v[8:9]
	v_add_f64 v[134:135], v[15:16], v[10:11]
	v_fma_f64 v[10:11], v[199:200], s[22:23], -v[190:191]
	v_mul_f64 v[8:9], v[59:60], s[48:49]
	v_add_f64 v[6:7], v[6:7], v[4:5]
	v_fma_f64 v[4:5], v[227:228], s[20:21], -v[217:218]
	v_mul_f64 v[217:218], v[23:24], s[42:43]
	v_add_f64 v[10:11], v[10:11], v[17:18]
	v_fma_f64 v[15:16], v[197:198], s[22:23], v[8:9]
	v_fma_f64 v[17:18], v[203:204], s[2:3], -v[186:187]
	v_add_f64 v[4:5], v[4:5], v[253:254]
	v_mul_f64 v[253:254], v[65:66], s[42:43]
	s_delay_alu instid0(VALU_DEP_4) | instskip(NEXT) | instid1(VALU_DEP_4)
	v_add_f64 v[15:16], v[15:16], v[152:153]
	v_add_f64 v[10:11], v[17:18], v[10:11]
	v_fma_f64 v[17:18], v[201:202], s[2:3], v[211:212]
	v_mul_f64 v[152:153], v[205:206], s[20:21]
	s_delay_alu instid0(VALU_DEP_2) | instskip(SKIP_1) | instid1(VALU_DEP_3)
	v_add_f64 v[15:16], v[17:18], v[15:16]
	v_fma_f64 v[17:18], v[207:208], s[28:29], -v[217:218]
	v_add_f64 v[152:153], v[152:153], v[47:48]
	v_mul_f64 v[47:48], v[35:36], s[46:47]
	s_delay_alu instid0(VALU_DEP_3) | instskip(SKIP_1) | instid1(VALU_DEP_3)
	v_add_f64 v[10:11], v[17:18], v[10:11]
	v_fma_f64 v[17:18], v[205:206], s[28:29], v[253:254]
	v_fma_f64 v[49:50], v[229:230], s[2:3], -v[47:48]
	s_delay_alu instid0(VALU_DEP_2) | instskip(SKIP_1) | instid1(VALU_DEP_1)
	v_add_f64 v[15:16], v[17:18], v[15:16]
	v_fma_f64 v[17:18], v[213:214], s[20:21], -v[231:232]
	v_add_f64 v[10:11], v[17:18], v[10:11]
	v_fma_f64 v[17:18], v[209:210], s[20:21], v[235:236]
	s_delay_alu instid0(VALU_DEP_1) | instskip(SKIP_1) | instid1(VALU_DEP_1)
	v_add_f64 v[15:16], v[17:18], v[15:16]
	v_fma_f64 v[17:18], v[221:222], s[8:9], -v[239:240]
	v_add_f64 v[10:11], v[17:18], v[10:11]
	v_fma_f64 v[17:18], v[215:216], s[8:9], v[243:244]
	s_delay_alu instid0(VALU_DEP_1) | instskip(SKIP_1) | instid1(VALU_DEP_1)
	;; [unrolled: 5-line block ×3, first 2 shown]
	v_add_f64 v[15:16], v[17:18], v[15:16]
	v_fma_f64 v[17:18], v[229:230], s[10:11], -v[233:234]
	v_add_f64 v[17:18], v[17:18], v[10:11]
	v_mul_f64 v[10:11], v[31:32], s[24:25]
	s_delay_alu instid0(VALU_DEP_1) | instskip(NEXT) | instid1(VALU_DEP_1)
	v_fma_f64 v[136:137], v[227:228], s[10:11], v[10:11]
	v_add_f64 v[15:16], v[136:137], v[15:16]
	v_mul_f64 v[136:137], v[63:64], s[18:19]
	s_delay_alu instid0(VALU_DEP_1) | instskip(NEXT) | instid1(VALU_DEP_1)
	v_add_f64 v[136:137], v[41:42], -v[136:137]
	v_add_f64 v[21:22], v[136:137], v[21:22]
	v_add_f64 v[136:137], v[138:139], v[192:193]
	v_mul_f64 v[138:139], v[215:216], s[26:27]
	v_mul_f64 v[192:193], v[63:64], s[24:25]
	s_delay_alu instid0(VALU_DEP_4) | instskip(NEXT) | instid1(VALU_DEP_4)
	v_add_f64 v[19:20], v[19:20], v[21:22]
	v_add_f64 v[21:22], v[144:145], v[136:137]
	s_delay_alu instid0(VALU_DEP_4)
	v_add_f64 v[138:139], v[138:139], v[53:54]
	v_mul_f64 v[136:137], v[37:38], s[42:43]
	v_mul_f64 v[144:145], v[223:224], s[28:29]
	v_add_f64 v[19:20], v[146:147], v[19:20]
	v_add_f64 v[21:22], v[152:153], v[21:22]
	v_mul_f64 v[146:147], v[35:36], s[40:41]
	v_add_f64 v[136:137], v[87:88], -v[136:137]
	v_add_f64 v[144:145], v[144:145], v[57:58]
	v_mul_f64 v[152:153], v[67:68], s[38:39]
	v_fma_f64 v[57:58], v[229:230], s[26:27], -v[55:56]
	v_add_f64 v[19:20], v[156:157], v[19:20]
	v_add_f64 v[21:22], v[158:159], v[21:22]
	v_add_f64 v[146:147], v[89:90], -v[146:147]
	v_dual_mov_b32 v90, v83 :: v_dual_mov_b32 v89, v82
	v_dual_mov_b32 v88, v81 :: v_dual_mov_b32 v87, v80
	v_mul_f64 v[80:81], v[23:24], s[50:51]
	v_mul_f64 v[23:24], v[69:70], s[16:17]
	v_dual_mov_b32 v83, v26 :: v_dual_mov_b32 v82, v25
	v_mul_f64 v[156:157], v[61:62], s[38:39]
	v_mul_f64 v[158:159], v[76:77], s[40:41]
	v_mov_b32_e32 v196, v75
	s_delay_alu instid0(VALU_DEP_4)
	v_mul_f64 v[91:92], v[82:83], s[40:41]
	v_mul_f64 v[39:40], v[82:83], s[48:49]
	v_add_f64 v[19:20], v[170:171], v[19:20]
	v_add_f64 v[21:22], v[138:139], v[21:22]
	v_mul_f64 v[138:139], v[227:228], s[30:31]
	v_fma_f64 v[25:26], v[209:210], s[2:3], v[23:24]
	v_fma_f64 v[23:24], v[209:210], s[2:3], -v[23:24]
	v_fma_f64 v[41:42], v[215:216], s[22:23], v[39:40]
	v_fma_f64 v[39:40], v[215:216], s[22:23], -v[39:40]
	v_add_f64 v[19:20], v[136:137], v[19:20]
	v_add_f64 v[136:137], v[144:145], v[21:22]
	;; [unrolled: 1-line block ×3, first 2 shown]
	v_dual_mov_b32 v74, v38 :: v_dual_mov_b32 v73, v37
	s_delay_alu instid0(VALU_DEP_1)
	v_mul_f64 v[43:44], v[73:74], s[24:25]
	v_mul_f64 v[51:52], v[73:74], s[46:47]
	v_add_f64 v[21:22], v[146:147], v[19:20]
	v_fma_f64 v[146:147], v[203:204], s[26:27], -v[152:153]
	v_add_f64 v[19:20], v[138:139], v[136:137]
	v_fma_f64 v[136:137], v[199:200], s[10:11], -v[192:193]
	v_fma_f64 v[138:139], v[203:204], s[20:21], -v[237:238]
	;; [unrolled: 1-line block ×4, first 2 shown]
	s_delay_alu instid0(VALU_DEP_4) | instskip(SKIP_1) | instid1(VALU_DEP_2)
	v_add_f64 v[136:137], v[136:137], v[150:151]
	v_mul_f64 v[150:151], v[59:60], s[34:35]
	v_add_f64 v[136:137], v[138:139], v[136:137]
	v_fma_f64 v[138:139], v[201:202], s[20:21], v[241:242]
	s_delay_alu instid0(VALU_DEP_3) | instskip(NEXT) | instid1(VALU_DEP_2)
	v_fma_f64 v[144:145], v[197:198], s[20:21], v[150:151]
	v_add_f64 v[2:3], v[138:139], v[2:3]
	v_fma_f64 v[138:139], v[207:208], s[26:27], -v[80:81]
	s_delay_alu instid0(VALU_DEP_3) | instskip(SKIP_1) | instid1(VALU_DEP_3)
	v_add_f64 v[144:145], v[144:145], v[160:161]
	v_mul_f64 v[160:161], v[65:66], s[40:41]
	v_add_f64 v[136:137], v[138:139], v[136:137]
	v_fma_f64 v[138:139], v[205:206], s[26:27], v[249:250]
	s_delay_alu instid0(VALU_DEP_1) | instskip(SKIP_1) | instid1(VALU_DEP_2)
	v_add_f64 v[2:3], v[138:139], v[2:3]
	v_fma_f64 v[138:139], v[213:214], s[2:3], -v[251:252]
	v_add_f64 v[2:3], v[25:26], v[2:3]
	v_mul_f64 v[25:26], v[29:30], s[40:41]
	v_fma_f64 v[29:30], v[215:216], s[30:31], v[91:92]
	s_delay_alu instid0(VALU_DEP_4) | instskip(NEXT) | instid1(VALU_DEP_3)
	v_add_f64 v[136:137], v[138:139], v[136:137]
	v_fma_f64 v[138:139], v[221:222], s[30:31], -v[25:26]
	s_delay_alu instid0(VALU_DEP_3) | instskip(SKIP_4) | instid1(SALU_CYCLE_1)
	v_add_f64 v[2:3], v[29:30], v[2:3]
	v_mul_f64 v[29:30], v[37:38], s[52:53]
	v_fma_f64 v[37:38], v[227:228], s[22:23], v[97:98]
	s_mov_b32 s53, 0x3fefdd0d
	s_mov_b32 s52, s42
	v_mul_f64 v[162:163], v[27:28], s[52:53]
	v_mul_f64 v[170:171], v[69:70], s[52:53]
	v_add_f64 v[136:137], v[138:139], v[136:137]
	v_add_f64 v[2:3], v[33:34], v[2:3]
	v_fma_f64 v[138:139], v[225:226], s[8:9], -v[29:30]
	v_mul_f64 v[33:34], v[35:36], s[36:37]
	s_delay_alu instid0(VALU_DEP_2) | instskip(NEXT) | instid1(VALU_DEP_2)
	v_add_f64 v[136:137], v[138:139], v[136:137]
	v_fma_f64 v[138:139], v[229:230], s[22:23], -v[33:34]
	s_delay_alu instid0(VALU_DEP_1) | instskip(SKIP_2) | instid1(VALU_DEP_1)
	v_add_f64 v[138:139], v[138:139], v[136:137]
	v_add_f64 v[136:137], v[37:38], v[2:3]
	v_mul_f64 v[2:3], v[63:64], s[34:35]
	v_fma_f64 v[37:38], v[199:200], s[20:21], -v[2:3]
	v_fma_f64 v[2:3], v[199:200], s[20:21], v[2:3]
	s_delay_alu instid0(VALU_DEP_2) | instskip(SKIP_1) | instid1(VALU_DEP_3)
	v_add_f64 v[37:38], v[37:38], v[188:189]
	v_mul_f64 v[188:189], v[71:72], s[48:49]
	v_add_f64 v[2:3], v[2:3], v[148:149]
	s_delay_alu instid0(VALU_DEP_3) | instskip(SKIP_1) | instid1(VALU_DEP_1)
	v_add_f64 v[37:38], v[146:147], v[37:38]
	v_fma_f64 v[146:147], v[201:202], s[26:27], v[156:157]
	v_add_f64 v[144:145], v[146:147], v[144:145]
	v_fma_f64 v[146:147], v[207:208], s[30:31], -v[158:159]
	s_delay_alu instid0(VALU_DEP_1) | instskip(SKIP_1) | instid1(VALU_DEP_1)
	v_add_f64 v[37:38], v[146:147], v[37:38]
	v_fma_f64 v[146:147], v[205:206], s[30:31], v[160:161]
	v_add_f64 v[144:145], v[146:147], v[144:145]
	v_fma_f64 v[146:147], v[213:214], s[28:29], -v[162:163]
	s_delay_alu instid0(VALU_DEP_1) | instskip(SKIP_1) | instid1(VALU_DEP_1)
	v_add_f64 v[37:38], v[146:147], v[37:38]
	v_fma_f64 v[146:147], v[209:210], s[28:29], v[170:171]
	v_add_f64 v[144:145], v[146:147], v[144:145]
	v_fma_f64 v[146:147], v[221:222], s[22:23], -v[188:189]
	s_delay_alu instid0(VALU_DEP_2) | instskip(NEXT) | instid1(VALU_DEP_2)
	v_add_f64 v[41:42], v[41:42], v[144:145]
	v_add_f64 v[37:38], v[146:147], v[37:38]
	s_delay_alu instid0(VALU_DEP_1) | instskip(SKIP_1) | instid1(VALU_DEP_2)
	v_add_f64 v[37:38], v[45:46], v[37:38]
	v_mul_f64 v[45:46], v[95:96], s[24:25]
	v_add_f64 v[146:147], v[49:50], v[37:38]
	s_delay_alu instid0(VALU_DEP_2) | instskip(SKIP_1) | instid1(VALU_DEP_2)
	v_fma_f64 v[144:145], v[223:224], s[10:11], v[45:46]
	v_mul_f64 v[37:38], v[31:32], s[46:47]
	v_add_f64 v[41:42], v[144:145], v[41:42]
	s_delay_alu instid0(VALU_DEP_2) | instskip(SKIP_1) | instid1(VALU_DEP_2)
	v_fma_f64 v[49:50], v[227:228], s[2:3], v[37:38]
	v_fma_f64 v[37:38], v[227:228], s[2:3], -v[37:38]
	v_add_f64 v[144:145], v[49:50], v[41:42]
	v_fma_f64 v[41:42], v[197:198], s[20:21], -v[150:151]
	v_fma_f64 v[49:50], v[203:204], s[26:27], v[152:153]
	s_delay_alu instid0(VALU_DEP_2) | instskip(NEXT) | instid1(VALU_DEP_2)
	v_add_f64 v[41:42], v[41:42], v[172:173]
	v_add_f64 v[2:3], v[49:50], v[2:3]
	v_fma_f64 v[49:50], v[201:202], s[26:27], -v[156:157]
	v_mul_f64 v[156:157], v[27:28], s[18:19]
	v_mul_f64 v[172:173], v[35:36], s[52:53]
	s_delay_alu instid0(VALU_DEP_3) | instskip(SKIP_2) | instid1(VALU_DEP_2)
	v_add_f64 v[41:42], v[49:50], v[41:42]
	v_fma_f64 v[49:50], v[207:208], s[30:31], v[158:159]
	v_mul_f64 v[158:159], v[69:70], s[18:19]
	v_add_f64 v[2:3], v[49:50], v[2:3]
	v_fma_f64 v[49:50], v[205:206], s[30:31], -v[160:161]
	v_mul_f64 v[160:161], v[71:72], s[46:47]
	s_delay_alu instid0(VALU_DEP_2) | instskip(SKIP_2) | instid1(VALU_DEP_2)
	v_add_f64 v[41:42], v[49:50], v[41:42]
	v_fma_f64 v[49:50], v[213:214], s[28:29], v[162:163]
	v_mul_f64 v[162:163], v[82:83], s[46:47]
	v_add_f64 v[2:3], v[49:50], v[2:3]
	v_fma_f64 v[49:50], v[209:210], s[28:29], -v[170:171]
	v_mul_f64 v[170:171], v[95:96], s[44:45]
	s_delay_alu instid0(VALU_DEP_2) | instskip(SKIP_2) | instid1(VALU_DEP_3)
	v_add_f64 v[41:42], v[49:50], v[41:42]
	v_fma_f64 v[49:50], v[221:222], s[22:23], v[188:189]
	v_mul_f64 v[188:189], v[82:83], s[34:35]
	v_add_f64 v[39:40], v[39:40], v[41:42]
	s_delay_alu instid0(VALU_DEP_3) | instskip(SKIP_2) | instid1(VALU_DEP_2)
	v_add_f64 v[2:3], v[49:50], v[2:3]
	v_fma_f64 v[41:42], v[225:226], s[10:11], v[43:44]
	v_mul_f64 v[43:44], v[67:68], s[40:41]
	v_add_f64 v[2:3], v[41:42], v[2:3]
	v_fma_f64 v[41:42], v[223:224], s[10:11], -v[45:46]
	s_delay_alu instid0(VALU_DEP_3) | instskip(NEXT) | instid1(VALU_DEP_2)
	v_fma_f64 v[45:46], v[203:204], s[30:31], v[43:44]
	v_add_f64 v[39:40], v[41:42], v[39:40]
	v_fma_f64 v[41:42], v[229:230], s[2:3], v[47:48]
	s_delay_alu instid0(VALU_DEP_2) | instskip(NEXT) | instid1(VALU_DEP_2)
	v_add_f64 v[148:149], v[37:38], v[39:40]
	v_add_f64 v[150:151], v[41:42], v[2:3]
	v_mul_f64 v[2:3], v[63:64], s[50:51]
	v_mul_f64 v[39:40], v[59:60], s[50:51]
	s_delay_alu instid0(VALU_DEP_2) | instskip(NEXT) | instid1(VALU_DEP_2)
	v_fma_f64 v[37:38], v[199:200], s[26:27], v[2:3]
	v_fma_f64 v[41:42], v[197:198], s[26:27], -v[39:40]
	v_fma_f64 v[2:3], v[199:200], s[26:27], -v[2:3]
	v_fma_f64 v[39:40], v[197:198], s[26:27], v[39:40]
	s_delay_alu instid0(VALU_DEP_4) | instskip(NEXT) | instid1(VALU_DEP_4)
	v_add_f64 v[37:38], v[37:38], v[154:155]
	v_add_f64 v[41:42], v[41:42], v[164:165]
	v_mul_f64 v[164:165], v[73:74], s[44:45]
	v_add_f64 v[2:3], v[2:3], v[176:177]
	v_add_f64 v[39:40], v[39:40], v[166:167]
	;; [unrolled: 1-line block ×3, first 2 shown]
	v_mul_f64 v[45:46], v[61:62], s[40:41]
	s_mov_b32 s41, 0x3fe0d888
	s_delay_alu instid0(SALU_CYCLE_1) | instskip(NEXT) | instid1(VALU_DEP_2)
	v_mul_f64 v[176:177], v[69:70], s[40:41]
	v_fma_f64 v[47:48], v[201:202], s[30:31], -v[45:46]
	s_delay_alu instid0(VALU_DEP_1) | instskip(SKIP_1) | instid1(VALU_DEP_1)
	v_add_f64 v[41:42], v[47:48], v[41:42]
	v_mul_f64 v[47:48], v[76:77], s[36:37]
	v_fma_f64 v[49:50], v[207:208], s[22:23], v[47:48]
	s_delay_alu instid0(VALU_DEP_1) | instskip(SKIP_1) | instid1(VALU_DEP_1)
	v_add_f64 v[37:38], v[49:50], v[37:38]
	v_mul_f64 v[49:50], v[65:66], s[36:37]
	v_fma_f64 v[152:153], v[205:206], s[22:23], -v[49:50]
	s_delay_alu instid0(VALU_DEP_1) | instskip(SKIP_1) | instid1(VALU_DEP_1)
	v_add_f64 v[41:42], v[152:153], v[41:42]
	v_fma_f64 v[152:153], v[213:214], s[8:9], v[156:157]
	v_add_f64 v[37:38], v[152:153], v[37:38]
	v_fma_f64 v[152:153], v[209:210], s[8:9], -v[158:159]
	s_delay_alu instid0(VALU_DEP_1) | instskip(SKIP_1) | instid1(VALU_DEP_1)
	v_add_f64 v[41:42], v[152:153], v[41:42]
	v_fma_f64 v[152:153], v[221:222], s[2:3], v[160:161]
	v_add_f64 v[37:38], v[152:153], v[37:38]
	v_fma_f64 v[152:153], v[215:216], s[2:3], -v[162:163]
	s_delay_alu instid0(VALU_DEP_1) | instskip(SKIP_1) | instid1(VALU_DEP_1)
	v_add_f64 v[41:42], v[152:153], v[41:42]
	v_fma_f64 v[152:153], v[225:226], s[20:21], v[164:165]
	v_add_f64 v[37:38], v[152:153], v[37:38]
	v_fma_f64 v[152:153], v[223:224], s[20:21], -v[170:171]
	s_delay_alu instid0(VALU_DEP_1) | instskip(SKIP_1) | instid1(VALU_DEP_1)
	v_add_f64 v[41:42], v[152:153], v[41:42]
	v_fma_f64 v[152:153], v[229:230], s[28:29], v[172:173]
	v_add_f64 v[154:155], v[152:153], v[37:38]
	v_mul_f64 v[37:38], v[31:32], s[52:53]
	s_delay_alu instid0(VALU_DEP_1) | instskip(SKIP_1) | instid1(VALU_DEP_2)
	v_fma_f64 v[152:153], v[227:228], s[28:29], -v[37:38]
	v_fma_f64 v[37:38], v[227:228], s[28:29], v[37:38]
	v_add_f64 v[152:153], v[152:153], v[41:42]
	v_fma_f64 v[41:42], v[203:204], s[30:31], -v[43:44]
	s_delay_alu instid0(VALU_DEP_1) | instskip(SKIP_1) | instid1(VALU_DEP_1)
	v_add_f64 v[2:3], v[41:42], v[2:3]
	v_fma_f64 v[41:42], v[201:202], s[30:31], v[45:46]
	v_add_f64 v[39:40], v[41:42], v[39:40]
	v_fma_f64 v[41:42], v[207:208], s[22:23], -v[47:48]
	s_delay_alu instid0(VALU_DEP_1) | instskip(SKIP_1) | instid1(VALU_DEP_1)
	v_add_f64 v[2:3], v[41:42], v[2:3]
	;; [unrolled: 5-line block ×4, first 2 shown]
	v_fma_f64 v[41:42], v[215:216], s[2:3], v[162:163]
	v_add_f64 v[39:40], v[41:42], v[39:40]
	v_fma_f64 v[41:42], v[225:226], s[20:21], -v[164:165]
	s_delay_alu instid0(VALU_DEP_1) | instskip(SKIP_2) | instid1(VALU_DEP_2)
	v_add_f64 v[2:3], v[41:42], v[2:3]
	v_fma_f64 v[41:42], v[223:224], s[20:21], v[170:171]
	v_mul_f64 v[170:171], v[59:60], s[40:41]
	v_add_f64 v[39:40], v[41:42], v[39:40]
	v_fma_f64 v[41:42], v[229:230], s[28:29], -v[172:173]
	s_delay_alu instid0(VALU_DEP_3) | instskip(SKIP_1) | instid1(VALU_DEP_4)
	v_fma_f64 v[164:165], v[197:198], s[30:31], v[170:171]
	v_mul_f64 v[172:173], v[61:62], s[36:37]
	v_add_f64 v[156:157], v[37:38], v[39:40]
	s_delay_alu instid0(VALU_DEP_4)
	v_add_f64 v[158:159], v[41:42], v[2:3]
	v_mul_f64 v[2:3], v[63:64], s[42:43]
	v_mul_f64 v[41:42], v[67:68], s[18:19]
	v_add_f64 v[164:165], v[164:165], v[168:169]
	v_mul_f64 v[168:169], v[67:68], s[36:37]
	v_mul_f64 v[67:68], v[71:72], s[52:53]
	v_fma_f64 v[37:38], v[199:200], s[28:29], -v[2:3]
	v_fma_f64 v[43:44], v[203:204], s[8:9], -v[41:42]
	s_delay_alu instid0(VALU_DEP_4) | instskip(NEXT) | instid1(VALU_DEP_3)
	v_fma_f64 v[166:167], v[203:204], s[22:23], -v[168:169]
	v_add_f64 v[12:13], v[37:38], v[12:13]
	v_mul_f64 v[37:38], v[59:60], s[42:43]
	v_mul_f64 v[59:60], v[65:66], s[16:17]
	s_delay_alu instid0(VALU_DEP_3) | instskip(NEXT) | instid1(VALU_DEP_3)
	v_add_f64 v[12:13], v[43:44], v[12:13]
	v_fma_f64 v[39:40], v[197:198], s[28:29], v[37:38]
	v_mul_f64 v[43:44], v[61:62], s[18:19]
	s_delay_alu instid0(VALU_DEP_4) | instskip(SKIP_1) | instid1(VALU_DEP_4)
	v_fma_f64 v[61:62], v[205:206], s[2:3], v[59:60]
	v_fma_f64 v[59:60], v[205:206], s[2:3], -v[59:60]
	v_add_f64 v[39:40], v[39:40], v[184:185]
	s_delay_alu instid0(VALU_DEP_4) | instskip(SKIP_2) | instid1(VALU_DEP_3)
	v_fma_f64 v[45:46], v[201:202], s[8:9], v[43:44]
	v_mul_f64 v[184:185], v[71:72], s[34:35]
	v_mul_f64 v[71:72], v[73:74], s[38:39]
	v_add_f64 v[39:40], v[45:46], v[39:40]
	v_mul_f64 v[45:46], v[76:77], s[24:25]
	s_delay_alu instid0(VALU_DEP_3) | instskip(NEXT) | instid1(VALU_DEP_2)
	v_fma_f64 v[73:74], v[225:226], s[26:27], -v[71:72]
	v_fma_f64 v[47:48], v[207:208], s[10:11], -v[45:46]
	s_delay_alu instid0(VALU_DEP_1) | instskip(SKIP_1) | instid1(VALU_DEP_1)
	v_add_f64 v[12:13], v[47:48], v[12:13]
	v_mul_f64 v[47:48], v[65:66], s[24:25]
	v_fma_f64 v[49:50], v[205:206], s[10:11], v[47:48]
	s_delay_alu instid0(VALU_DEP_1) | instskip(SKIP_1) | instid1(VALU_DEP_1)
	v_add_f64 v[39:40], v[49:50], v[39:40]
	v_mul_f64 v[49:50], v[27:28], s[40:41]
	v_fma_f64 v[160:161], v[213:214], s[30:31], -v[49:50]
	s_delay_alu instid0(VALU_DEP_1) | instskip(SKIP_1) | instid1(VALU_DEP_1)
	v_add_f64 v[12:13], v[160:161], v[12:13]
	v_fma_f64 v[160:161], v[209:210], s[30:31], v[176:177]
	v_add_f64 v[39:40], v[160:161], v[39:40]
	v_fma_f64 v[160:161], v[221:222], s[20:21], -v[184:185]
	s_delay_alu instid0(VALU_DEP_1) | instskip(SKIP_1) | instid1(VALU_DEP_2)
	v_add_f64 v[12:13], v[160:161], v[12:13]
	v_fma_f64 v[160:161], v[215:216], s[20:21], v[188:189]
	v_add_f64 v[12:13], v[53:54], v[12:13]
	v_mul_f64 v[53:54], v[95:96], s[46:47]
	s_delay_alu instid0(VALU_DEP_3) | instskip(NEXT) | instid1(VALU_DEP_3)
	v_add_f64 v[39:40], v[160:161], v[39:40]
	v_add_f64 v[162:163], v[57:58], v[12:13]
	s_delay_alu instid0(VALU_DEP_3) | instskip(SKIP_1) | instid1(VALU_DEP_2)
	v_fma_f64 v[160:161], v[223:224], s[2:3], v[53:54]
	v_mul_f64 v[12:13], v[31:32], s[50:51]
	v_add_f64 v[39:40], v[160:161], v[39:40]
	s_delay_alu instid0(VALU_DEP_2) | instskip(SKIP_1) | instid1(VALU_DEP_2)
	v_fma_f64 v[57:58], v[227:228], s[26:27], v[12:13]
	v_fma_f64 v[12:13], v[227:228], s[26:27], -v[12:13]
	v_add_f64 v[160:161], v[57:58], v[39:40]
	v_mul_f64 v[39:40], v[63:64], s[40:41]
	v_mul_f64 v[63:64], v[27:28], s[24:25]
	scratch_load_b64 v[27:28], off, off offset:428 ; 8-byte Folded Reload
	v_fma_f64 v[57:58], v[199:200], s[30:31], -v[39:40]
	v_fma_f64 v[65:66], v[213:214], s[10:11], -v[63:64]
	v_fma_f64 v[39:40], v[199:200], s[30:31], v[39:40]
	s_delay_alu instid0(VALU_DEP_3)
	v_add_f64 v[57:58], v[57:58], v[194:195]
	v_mul_f64 v[194:195], v[76:77], s[16:17]
	v_mul_f64 v[75:76], v[35:36], s[18:19]
	;; [unrolled: 1-line block ×3, first 2 shown]
	v_add_f64 v[39:40], v[39:40], v[178:179]
	v_add_f64 v[57:58], v[166:167], v[57:58]
	v_fma_f64 v[166:167], v[201:202], s[22:23], v[172:173]
	s_delay_alu instid0(VALU_DEP_1) | instskip(SKIP_1) | instid1(VALU_DEP_2)
	v_add_f64 v[164:165], v[166:167], v[164:165]
	v_fma_f64 v[166:167], v[207:208], s[2:3], -v[194:195]
	v_add_f64 v[61:62], v[61:62], v[164:165]
	s_delay_alu instid0(VALU_DEP_2) | instskip(NEXT) | instid1(VALU_DEP_1)
	v_add_f64 v[57:58], v[166:167], v[57:58]
	v_add_f64 v[57:58], v[65:66], v[57:58]
	v_mul_f64 v[65:66], v[69:70], s[24:25]
	v_fma_f64 v[69:70], v[221:222], s[28:29], -v[67:68]
	s_delay_alu instid0(VALU_DEP_2) | instskip(NEXT) | instid1(VALU_DEP_2)
	v_fma_f64 v[164:165], v[209:210], s[10:11], v[65:66]
	v_add_f64 v[57:58], v[69:70], v[57:58]
	v_mul_f64 v[69:70], v[82:83], s[52:53]
	s_delay_alu instid0(VALU_DEP_3) | instskip(NEXT) | instid1(VALU_DEP_3)
	v_add_f64 v[61:62], v[164:165], v[61:62]
	v_add_f64 v[57:58], v[73:74], v[57:58]
	s_delay_alu instid0(VALU_DEP_3) | instskip(SKIP_1) | instid1(VALU_DEP_2)
	v_fma_f64 v[164:165], v[215:216], s[28:29], v[69:70]
	v_mul_f64 v[73:74], v[95:96], s[38:39]
	v_add_f64 v[61:62], v[164:165], v[61:62]
	s_delay_alu instid0(VALU_DEP_2) | instskip(NEXT) | instid1(VALU_DEP_1)
	v_fma_f64 v[164:165], v[223:224], s[26:27], v[73:74]
	v_add_f64 v[61:62], v[164:165], v[61:62]
	v_fma_f64 v[164:165], v[229:230], s[8:9], -v[75:76]
	s_delay_alu instid0(VALU_DEP_1) | instskip(SKIP_1) | instid1(VALU_DEP_1)
	v_add_f64 v[166:167], v[164:165], v[57:58]
	v_fma_f64 v[57:58], v[227:228], s[8:9], v[77:78]
	v_add_f64 v[164:165], v[57:58], v[61:62]
	v_fma_f64 v[57:58], v[197:198], s[30:31], -v[170:171]
	v_fma_f64 v[61:62], v[203:204], s[22:23], v[168:169]
	s_delay_alu instid0(VALU_DEP_2) | instskip(NEXT) | instid1(VALU_DEP_2)
	v_add_f64 v[57:58], v[57:58], v[85:86]
	v_add_f64 v[39:40], v[61:62], v[39:40]
	v_fma_f64 v[61:62], v[201:202], s[22:23], -v[172:173]
	s_delay_alu instid0(VALU_DEP_1) | instskip(SKIP_1) | instid1(VALU_DEP_2)
	v_add_f64 v[57:58], v[61:62], v[57:58]
	v_fma_f64 v[61:62], v[207:208], s[2:3], v[194:195]
	v_add_f64 v[57:58], v[59:60], v[57:58]
	s_delay_alu instid0(VALU_DEP_2) | instskip(SKIP_2) | instid1(VALU_DEP_2)
	v_add_f64 v[39:40], v[61:62], v[39:40]
	v_fma_f64 v[59:60], v[213:214], s[10:11], v[63:64]
	v_fma_f64 v[61:62], v[227:228], s[8:9], -v[77:78]
	v_add_f64 v[39:40], v[59:60], v[39:40]
	v_fma_f64 v[59:60], v[209:210], s[10:11], -v[65:66]
	s_delay_alu instid0(VALU_DEP_1) | instskip(SKIP_1) | instid1(VALU_DEP_1)
	v_add_f64 v[57:58], v[59:60], v[57:58]
	v_fma_f64 v[59:60], v[221:222], s[28:29], v[67:68]
	v_add_f64 v[39:40], v[59:60], v[39:40]
	v_fma_f64 v[59:60], v[215:216], s[28:29], -v[69:70]
	s_delay_alu instid0(VALU_DEP_1) | instskip(SKIP_1) | instid1(VALU_DEP_1)
	v_add_f64 v[57:58], v[59:60], v[57:58]
	v_fma_f64 v[59:60], v[225:226], s[26:27], v[71:72]
	v_add_f64 v[39:40], v[59:60], v[39:40]
	v_fma_f64 v[59:60], v[223:224], s[26:27], -v[73:74]
	s_delay_alu instid0(VALU_DEP_1) | instskip(SKIP_1) | instid1(VALU_DEP_2)
	v_add_f64 v[57:58], v[59:60], v[57:58]
	v_fma_f64 v[59:60], v[229:230], s[8:9], v[75:76]
	v_add_f64 v[168:169], v[61:62], v[57:58]
	s_delay_alu instid0(VALU_DEP_2) | instskip(SKIP_3) | instid1(VALU_DEP_2)
	v_add_f64 v[170:171], v[59:60], v[39:40]
	v_fma_f64 v[39:40], v[199:200], s[10:11], v[192:193]
	v_fma_f64 v[57:58], v[203:204], s[20:21], v[237:238]
	s_waitcnt vmcnt(0)
	v_add_f64 v[39:40], v[39:40], v[27:28]
	v_fma_f64 v[27:28], v[227:228], s[22:23], -v[97:98]
	s_delay_alu instid0(VALU_DEP_2) | instskip(SKIP_1) | instid1(VALU_DEP_1)
	v_add_f64 v[39:40], v[57:58], v[39:40]
	v_fma_f64 v[57:58], v[201:202], s[20:21], -v[241:242]
	v_add_f64 v[0:1], v[57:58], v[0:1]
	v_fma_f64 v[57:58], v[207:208], s[26:27], v[80:81]
	v_dual_mov_b32 v80, v87 :: v_dual_mov_b32 v83, v90
	v_mov_b32_e32 v81, v88
	v_dual_mov_b32 v75, v196 :: v_dual_mov_b32 v82, v89
	v_mov_b32_e32 v196, v84
	v_add_f64 v[39:40], v[57:58], v[39:40]
	v_fma_f64 v[57:58], v[205:206], s[26:27], -v[249:250]
	s_delay_alu instid0(VALU_DEP_1) | instskip(SKIP_1) | instid1(VALU_DEP_2)
	v_add_f64 v[0:1], v[57:58], v[0:1]
	v_fma_f64 v[57:58], v[213:214], s[2:3], v[251:252]
	v_add_f64 v[0:1], v[23:24], v[0:1]
	s_delay_alu instid0(VALU_DEP_2) | instskip(SKIP_2) | instid1(VALU_DEP_2)
	v_add_f64 v[39:40], v[57:58], v[39:40]
	v_fma_f64 v[23:24], v[221:222], s[30:31], v[25:26]
	v_fma_f64 v[25:26], v[215:216], s[30:31], -v[91:92]
	v_add_f64 v[23:24], v[23:24], v[39:40]
	s_delay_alu instid0(VALU_DEP_2) | instskip(SKIP_1) | instid1(VALU_DEP_1)
	v_add_f64 v[0:1], v[25:26], v[0:1]
	v_fma_f64 v[25:26], v[225:226], s[8:9], v[29:30]
	v_add_f64 v[23:24], v[25:26], v[23:24]
	v_fma_f64 v[25:26], v[223:224], s[8:9], -v[93:94]
	s_delay_alu instid0(VALU_DEP_1) | instskip(SKIP_1) | instid1(VALU_DEP_2)
	v_add_f64 v[0:1], v[25:26], v[0:1]
	v_fma_f64 v[25:26], v[229:230], s[22:23], v[33:34]
	v_add_f64 v[172:173], v[27:28], v[0:1]
	v_fma_f64 v[0:1], v[199:200], s[28:29], v[2:3]
	scratch_load_b64 v[2:3], off, off offset:420 ; 8-byte Folded Reload
	v_add_f64 v[174:175], v[25:26], v[23:24]
	scratch_load_b64 v[23:24], off, off offset:412 ; 8-byte Folded Reload
	s_waitcnt vmcnt(1)
	v_add_f64 v[0:1], v[0:1], v[2:3]
	v_fma_f64 v[2:3], v[197:198], s[28:29], -v[37:38]
	s_waitcnt vmcnt(0)
	s_delay_alu instid0(VALU_DEP_1) | instskip(SKIP_1) | instid1(VALU_DEP_1)
	v_add_f64 v[2:3], v[2:3], v[23:24]
	v_fma_f64 v[23:24], v[203:204], s[8:9], v[41:42]
	v_add_f64 v[0:1], v[23:24], v[0:1]
	v_fma_f64 v[23:24], v[201:202], s[8:9], -v[43:44]
	s_delay_alu instid0(VALU_DEP_1) | instskip(SKIP_1) | instid1(VALU_DEP_1)
	v_add_f64 v[2:3], v[23:24], v[2:3]
	v_fma_f64 v[23:24], v[207:208], s[10:11], v[45:46]
	v_add_f64 v[0:1], v[23:24], v[0:1]
	v_fma_f64 v[23:24], v[205:206], s[10:11], -v[47:48]
	;; [unrolled: 5-line block ×5, first 2 shown]
	s_delay_alu instid0(VALU_DEP_1) | instskip(SKIP_1) | instid1(VALU_DEP_2)
	v_add_f64 v[2:3], v[23:24], v[2:3]
	v_fma_f64 v[23:24], v[229:230], s[26:27], v[55:56]
	v_add_f64 v[176:177], v[12:13], v[2:3]
	scratch_load_b64 v[12:13], off, off offset:404 ; 8-byte Folded Reload
	v_add_f64 v[178:179], v[23:24], v[0:1]
	scratch_load_b64 v[23:24], off, off offset:396 ; 8-byte Folded Reload
	v_fma_f64 v[0:1], v[199:200], s[22:23], v[190:191]
	v_fma_f64 v[2:3], v[197:198], s[22:23], -v[8:9]
	v_fma_f64 v[8:9], v[203:204], s[2:3], v[186:187]
	s_waitcnt vmcnt(1)
	s_delay_alu instid0(VALU_DEP_3) | instskip(SKIP_2) | instid1(VALU_DEP_4)
	v_add_f64 v[0:1], v[0:1], v[12:13]
	v_fma_f64 v[12:13], v[201:202], s[2:3], -v[211:212]
	s_waitcnt vmcnt(0)
	v_add_f64 v[2:3], v[2:3], v[23:24]
	v_fma_f64 v[23:24], v[207:208], s[28:29], v[217:218]
	s_delay_alu instid0(VALU_DEP_4) | instskip(SKIP_1) | instid1(VALU_DEP_4)
	v_add_f64 v[0:1], v[8:9], v[0:1]
	v_fma_f64 v[8:9], v[205:206], s[28:29], -v[253:254]
	v_add_f64 v[2:3], v[12:13], v[2:3]
	v_fma_f64 v[12:13], v[213:214], s[20:21], v[231:232]
	s_delay_alu instid0(VALU_DEP_4) | instskip(SKIP_1) | instid1(VALU_DEP_4)
	v_add_f64 v[0:1], v[23:24], v[0:1]
	v_fma_f64 v[23:24], v[209:210], s[20:21], -v[235:236]
	;; [unrolled: 5-line block ×3, first 2 shown]
	v_add_f64 v[2:3], v[23:24], v[2:3]
	v_fma_f64 v[23:24], v[225:226], s[30:31], v[247:248]
	v_mov_b32_e32 v244, v79
	v_dual_mov_b32 v76, v180 :: v_dual_mov_b32 v79, v183
	v_dual_mov_b32 v77, v181 :: v_dual_mov_b32 v78, v182
	v_add_f64 v[0:1], v[8:9], v[0:1]
	v_fma_f64 v[8:9], v[223:224], s[30:31], -v[219:220]
	v_add_f64 v[2:3], v[12:13], v[2:3]
	v_fma_f64 v[12:13], v[229:230], s[10:11], v[233:234]
	s_delay_alu instid0(VALU_DEP_4) | instskip(SKIP_1) | instid1(VALU_DEP_4)
	v_add_f64 v[0:1], v[23:24], v[0:1]
	v_fma_f64 v[23:24], v[227:228], s[10:11], -v[10:11]
	v_add_f64 v[2:3], v[8:9], v[2:3]
	s_delay_alu instid0(VALU_DEP_3) | instskip(SKIP_4) | instid1(VALU_DEP_1)
	v_add_f64 v[10:11], v[12:13], v[0:1]
	scratch_load_b32 v1, off, off           ; 4-byte Folded Reload
	v_add_f64 v[8:9], v[23:24], v[2:3]
	scratch_load_b128 v[23:26], off, off offset:380 ; 16-byte Folded Reload
	v_mul_lo_u16 v0, v245, 17
	v_and_b32_e32 v0, 0xffff, v0
	s_waitcnt vmcnt(1)
	s_delay_alu instid0(VALU_DEP_1)
	v_lshl_add_u32 v0, v0, 4, v1
	s_waitcnt vmcnt(0)
	ds_store_b128 v0, v[23:26]
	ds_store_b128 v0, v[15:18] offset:16
	ds_store_b128 v0, v[160:163] offset:32
	;; [unrolled: 1-line block ×16, first 2 shown]
.LBB0_17:
	s_or_b32 exec_lo, exec_lo, s1
	s_waitcnt lgkmcnt(0)
	s_waitcnt_vscnt null, 0x0
	s_barrier
	buffer_gl0_inv
	ds_load_b128 v[0:3], v255 offset:9520
	ds_load_b128 v[4:7], v255 offset:10880
	;; [unrolled: 1-line block ×8, first 2 shown]
	s_clause 0x2
	scratch_load_b128 v[53:56], off, off offset:28
	scratch_load_b128 v[49:52], off, off offset:12
	;; [unrolled: 1-line block ×3, first 2 shown]
	s_waitcnt vmcnt(2) lgkmcnt(7)
	v_mul_f64 v[12:13], v[55:56], v[2:3]
	v_mul_f64 v[23:24], v[55:56], v[0:1]
	scratch_load_b128 v[55:58], off, off offset:76 ; 16-byte Folded Reload
	s_waitcnt vmcnt(2) lgkmcnt(6)
	v_mul_f64 v[25:26], v[51:52], v[6:7]
	v_mul_f64 v[27:28], v[51:52], v[4:5]
	s_waitcnt vmcnt(1) lgkmcnt(1)
	v_mul_f64 v[45:46], v[67:68], v[138:139]
	v_mul_f64 v[47:48], v[67:68], v[136:137]
	v_fma_f64 v[12:13], v[53:54], v[0:1], v[12:13]
	v_fma_f64 v[23:24], v[53:54], v[2:3], -v[23:24]
	v_fma_f64 v[4:5], v[49:50], v[4:5], v[25:26]
	v_fma_f64 v[6:7], v[49:50], v[6:7], -v[27:28]
	s_waitcnt vmcnt(0)
	v_mul_f64 v[29:30], v[57:58], v[10:11]
	v_mul_f64 v[31:32], v[57:58], v[8:9]
	scratch_load_b128 v[57:60], off, off offset:92 ; 16-byte Folded Reload
	v_fma_f64 v[25:26], v[55:56], v[8:9], v[29:30]
	v_fma_f64 v[49:50], v[55:56], v[10:11], -v[31:32]
	s_waitcnt vmcnt(0)
	v_mul_f64 v[33:34], v[59:60], v[17:18]
	v_mul_f64 v[35:36], v[59:60], v[15:16]
	scratch_load_b128 v[59:62], off, off offset:108 ; 16-byte Folded Reload
	;; [unrolled: 6-line block ×3, first 2 shown]
	v_fma_f64 v[55:56], v[59:60], v[19:20], v[37:38]
	v_fma_f64 v[57:58], v[59:60], v[21:22], -v[39:40]
	ds_load_b128 v[0:3], v255
	ds_load_b128 v[8:11], v255 offset:1360
	ds_load_b128 v[15:18], v255 offset:2720
	;; [unrolled: 1-line block ×5, first 2 shown]
	s_waitcnt vmcnt(0) lgkmcnt(0)
	s_barrier
	buffer_gl0_inv
	v_add_f64 v[36:37], v[0:1], -v[12:13]
	scratch_load_b32 v12, off, off offset:128 ; 4-byte Folded Reload
	v_add_f64 v[38:39], v[2:3], -v[23:24]
	v_mul_f64 v[41:42], v[63:64], v[134:135]
	v_mul_f64 v[43:44], v[63:64], v[132:133]
	v_fma_f64 v[63:64], v[65:66], v[136:137], v[45:46]
	v_fma_f64 v[65:66], v[65:66], v[138:139], -v[47:48]
	v_fma_f64 v[136:137], v[0:1], 2.0, -v[36:37]
	v_fma_f64 v[138:139], v[2:3], 2.0, -v[38:39]
	v_add_f64 v[46:47], v[17:18], -v[49:50]
	v_add_f64 v[48:49], v[19:20], -v[51:52]
	;; [unrolled: 1-line block ×3, first 2 shown]
	s_waitcnt vmcnt(0)
	ds_store_b128 v12, v[136:139]
	ds_store_b128 v12, v[36:39] offset:272
	v_fma_f64 v[59:60], v[61:62], v[132:133], v[41:42]
	v_fma_f64 v[61:62], v[61:62], v[134:135], -v[43:44]
	v_add_f64 v[40:41], v[8:9], -v[4:5]
	v_add_f64 v[42:43], v[10:11], -v[6:7]
	;; [unrolled: 1-line block ×3, first 2 shown]
	v_fma_f64 v[17:18], v[17:18], 2.0, -v[46:47]
	v_fma_f64 v[19:20], v[19:20], 2.0, -v[48:49]
	v_fma_f64 v[21:22], v[21:22], 2.0, -v[50:51]
	v_add_f64 v[132:133], v[28:29], -v[55:56]
	v_add_f64 v[134:135], v[30:31], -v[57:58]
	scratch_load_b32 v12, off, off offset:132 ; 4-byte Folded Reload
	v_add_f64 v[24:25], v[144:145], -v[63:64]
	v_add_f64 v[26:27], v[146:147], -v[65:66]
	;; [unrolled: 1-line block ×4, first 2 shown]
	v_fma_f64 v[8:9], v[8:9], 2.0, -v[40:41]
	v_fma_f64 v[10:11], v[10:11], 2.0, -v[42:43]
	;; [unrolled: 1-line block ×3, first 2 shown]
	s_waitcnt vmcnt(0)
	ds_store_b128 v12, v[8:11]
	ds_store_b128 v12, v[40:43] offset:272
	scratch_load_b32 v8, off, off offset:124 ; 4-byte Folded Reload
	v_fma_f64 v[148:149], v[28:29], 2.0, -v[132:133]
	v_fma_f64 v[150:151], v[30:31], 2.0, -v[134:135]
	;; [unrolled: 1-line block ×6, first 2 shown]
	s_waitcnt vmcnt(0)
	ds_store_b128 v8, v[15:18]
	ds_store_b128 v8, v[44:47] offset:272
	ds_store_b128 v75, v[19:22]
	ds_store_b128 v75, v[48:51] offset:272
	scratch_load_b32 v8, off, off offset:312 ; 4-byte Folded Reload
	s_waitcnt vmcnt(0)
	ds_store_b128 v8, v[148:151]
	ds_store_b128 v8, v[132:135] offset:272
	scratch_load_b32 v8, off, off offset:308 ; 4-byte Folded Reload
	s_waitcnt vmcnt(0)
	;; [unrolled: 4-line block ×3, first 2 shown]
	ds_store_b128 v8, v[28:31]
	ds_store_b128 v8, v[24:27] offset:272
	s_waitcnt lgkmcnt(0)
	s_barrier
	buffer_gl0_inv
	ds_load_b128 v[36:39], v255
	ds_load_b128 v[32:35], v255 offset:1360
	ds_load_b128 v[136:139], v255 offset:3808
	;; [unrolled: 1-line block ×9, first 2 shown]
	s_and_saveexec_b32 s1, s0
	s_cbranch_execz .LBB0_19
; %bb.18:
	ds_load_b128 v[0:3], v255 offset:2720
	ds_load_b128 v[4:7], v255 offset:6528
	;; [unrolled: 1-line block ×5, first 2 shown]
.LBB0_19:
	s_or_b32 exec_lo, exec_lo, s1
	s_clause 0x5
	scratch_load_b128 v[164:167], off, off offset:216
	scratch_load_b128 v[160:163], off, off offset:200
	;; [unrolled: 1-line block ×6, first 2 shown]
	s_waitcnt lgkmcnt(5)
	v_mul_f64 v[10:11], v[78:79], v[146:147]
	s_waitcnt lgkmcnt(2)
	v_mul_f64 v[66:67], v[82:83], v[48:49]
	v_mul_f64 v[58:59], v[82:83], v[50:51]
	v_mul_f64 v[19:20], v[78:79], v[144:145]
	s_waitcnt vmcnt(0) lgkmcnt(0)
	s_barrier
	buffer_gl0_inv
	s_mov_b32 s2, 0x134454ff
	s_mov_b32 s3, 0xbfee6f0e
	;; [unrolled: 1-line block ×10, first 2 shown]
	v_fma_f64 v[10:11], v[76:77], v[144:145], v[10:11]
	v_fma_f64 v[50:51], v[80:81], v[50:51], -v[66:67]
	v_fma_f64 v[48:49], v[80:81], v[48:49], v[58:59]
	v_fma_f64 v[19:20], v[76:77], v[146:147], -v[19:20]
	v_mul_f64 v[8:9], v[166:167], v[138:139]
	v_mul_f64 v[17:18], v[162:163], v[154:155]
	;; [unrolled: 1-line block ×12, first 2 shown]
	v_fma_f64 v[8:9], v[164:165], v[136:137], v[8:9]
	v_fma_f64 v[17:18], v[160:161], v[152:153], v[17:18]
	;; [unrolled: 1-line block ×3, first 2 shown]
	v_fma_f64 v[42:43], v[88:89], v[42:43], -v[60:61]
	v_fma_f64 v[44:45], v[70:71], v[44:45], v[56:57]
	v_fma_f64 v[46:47], v[70:71], v[46:47], -v[64:65]
	v_fma_f64 v[56:57], v[84:85], v[134:135], -v[68:69]
	v_fma_f64 v[40:41], v[88:89], v[40:41], v[54:55]
	v_fma_f64 v[54:55], v[84:85], v[132:133], v[62:63]
	v_fma_f64 v[21:22], v[156:157], v[150:151], -v[21:22]
	v_fma_f64 v[15:16], v[164:165], v[138:139], -v[15:16]
	;; [unrolled: 1-line block ×3, first 2 shown]
	v_add_f64 v[74:75], v[36:37], v[8:9]
	v_add_f64 v[60:61], v[8:9], v[17:18]
	;; [unrolled: 1-line block ×4, first 2 shown]
	v_add_f64 v[134:135], v[8:9], -v[17:18]
	v_add_f64 v[70:71], v[46:47], v[50:51]
	v_add_f64 v[72:73], v[42:43], v[56:57]
	v_add_f64 v[144:145], v[17:18], -v[12:13]
	v_add_f64 v[146:147], v[12:13], -v[17:18]
	v_add_f64 v[62:63], v[19:20], v[21:22]
	v_add_f64 v[80:81], v[38:39], v[15:16]
	;; [unrolled: 1-line block ×5, first 2 shown]
	v_add_f64 v[76:77], v[15:16], -v[52:53]
	v_add_f64 v[82:83], v[32:33], v[40:41]
	v_add_f64 v[78:79], v[19:20], -v[21:22]
	v_add_f64 v[148:149], v[15:16], -v[19:20]
	;; [unrolled: 1-line block ×15, first 2 shown]
	v_fma_f64 v[58:59], v[58:59], -0.5, v[36:37]
	v_fma_f64 v[36:37], v[60:61], -0.5, v[36:37]
	v_add_f64 v[60:61], v[10:11], -v[12:13]
	v_fma_f64 v[70:71], v[70:71], -0.5, v[34:35]
	v_fma_f64 v[34:35], v[72:73], -0.5, v[34:35]
	v_add_f64 v[72:73], v[8:9], -v[10:11]
	v_add_f64 v[8:9], v[10:11], -v[8:9]
	v_add_f64 v[10:11], v[74:75], v[10:11]
	v_fma_f64 v[62:63], v[62:63], -0.5, v[38:39]
	v_fma_f64 v[38:39], v[64:65], -0.5, v[38:39]
	v_add_f64 v[19:20], v[80:81], v[19:20]
	v_add_f64 v[64:65], v[46:47], -v[50:51]
	v_fma_f64 v[66:67], v[66:67], -0.5, v[32:33]
	v_fma_f64 v[32:33], v[68:69], -0.5, v[32:33]
	v_add_f64 v[68:69], v[44:45], -v[48:49]
	v_add_f64 v[44:45], v[82:83], v[44:45]
	v_add_f64 v[46:47], v[132:133], v[46:47]
	v_fma_f64 v[74:75], v[76:77], s[2:3], v[58:59]
	v_fma_f64 v[80:81], v[78:79], s[8:9], v[36:37]
	;; [unrolled: 1-line block ×5, first 2 shown]
	v_add_f64 v[72:73], v[72:73], v[144:145]
	v_add_f64 v[144:145], v[8:9], v[146:147]
	;; [unrolled: 1-line block ×3, first 2 shown]
	scratch_load_b32 v13, off, off offset:268 ; 4-byte Folded Reload
	v_fma_f64 v[82:83], v[134:135], s[8:9], v[62:63]
	v_fma_f64 v[132:133], v[60:61], s[2:3], v[38:39]
	;; [unrolled: 1-line block ×4, first 2 shown]
	v_add_f64 v[11:12], v[19:20], v[21:22]
	v_add_f64 v[146:147], v[148:149], v[150:151]
	;; [unrolled: 1-line block ×6, first 2 shown]
	v_fma_f64 v[166:167], v[136:137], s[2:3], v[66:67]
	v_fma_f64 v[66:67], v[136:137], s[8:9], v[66:67]
	;; [unrolled: 1-line block ×4, first 2 shown]
	v_add_f64 v[152:153], v[40:41], v[158:159]
	v_add_f64 v[15:16], v[44:45], v[48:49]
	v_fma_f64 v[172:173], v[68:69], s[2:3], v[34:35]
	v_fma_f64 v[34:35], v[68:69], s[8:9], v[34:35]
	;; [unrolled: 1-line block ×3, first 2 shown]
	v_add_f64 v[154:155], v[160:161], v[162:163]
	v_fma_f64 v[21:22], v[78:79], s[16:17], v[74:75]
	v_fma_f64 v[42:43], v[76:77], s[16:17], v[80:81]
	;; [unrolled: 1-line block ×5, first 2 shown]
	v_add_f64 v[9:10], v[8:9], v[17:18]
	v_add_nc_u32_e32 v8, 0x550, v14
	v_fma_f64 v[46:47], v[60:61], s[10:11], v[82:83]
	v_fma_f64 v[50:51], v[134:135], s[10:11], v[132:133]
	;; [unrolled: 1-line block ×4, first 2 shown]
	v_add_f64 v[11:12], v[11:12], v[52:53]
	v_add_f64 v[17:18], v[19:20], v[56:57]
	v_fma_f64 v[60:61], v[64:65], s[16:17], v[166:167]
	v_fma_f64 v[62:63], v[64:65], s[10:11], v[66:67]
	;; [unrolled: 1-line block ×4, first 2 shown]
	v_add_f64 v[15:16], v[15:16], v[54:55]
	v_fma_f64 v[76:77], v[138:139], s[10:11], v[172:173]
	v_fma_f64 v[78:79], v[138:139], s[16:17], v[34:35]
	;; [unrolled: 1-line block ×12, first 2 shown]
	s_waitcnt vmcnt(0)
	ds_store_b128 v13, v[9:12]
	ds_store_b128 v13, v[19:22] offset:544
	ds_store_b128 v13, v[36:39] offset:1088
	;; [unrolled: 1-line block ×4, first 2 shown]
	scratch_load_b32 v9, off, off offset:264 ; 4-byte Folded Reload
	v_fma_f64 v[44:45], v[150:151], s[18:19], v[60:61]
	v_fma_f64 v[52:53], v[152:153], s[18:19], v[64:65]
	;; [unrolled: 1-line block ×7, first 2 shown]
	s_waitcnt vmcnt(0)
	ds_store_b128 v9, v[15:18]
	ds_store_b128 v9, v[44:47] offset:544
	ds_store_b128 v9, v[52:55] offset:1088
	;; [unrolled: 1-line block ×4, first 2 shown]
	s_and_saveexec_b32 s1, s0
	s_cbranch_execz .LBB0_21
; %bb.20:
	s_clause 0x4
	scratch_load_b128 v[40:43], off, off offset:332
	scratch_load_b128 v[36:39], off, off offset:316
	;; [unrolled: 1-line block ×4, first 2 shown]
	scratch_load_b32 v13, off, off offset:4
	s_waitcnt vmcnt(4)
	v_mul_f64 v[9:10], v[42:43], v[28:29]
	s_waitcnt vmcnt(3)
	v_mul_f64 v[17:18], v[38:39], v[24:25]
	;; [unrolled: 2-line block ×4, first 2 shown]
	v_mul_f64 v[19:20], v[42:43], v[30:31]
	v_mul_f64 v[21:22], v[38:39], v[26:27]
	;; [unrolled: 1-line block ×4, first 2 shown]
	v_fma_f64 v[9:10], v[40:41], v[30:31], -v[9:10]
	v_fma_f64 v[6:7], v[48:49], v[6:7], -v[11:12]
	;; [unrolled: 1-line block ×4, first 2 shown]
	v_fma_f64 v[17:18], v[40:41], v[28:29], v[19:20]
	v_fma_f64 v[19:20], v[36:37], v[24:25], v[21:22]
	v_fma_f64 v[4:5], v[48:49], v[4:5], v[32:33]
	v_fma_f64 v[21:22], v[44:45], v[140:141], v[34:35]
	v_add_f64 v[35:36], v[2:3], v[6:7]
	v_add_f64 v[23:24], v[6:7], v[11:12]
	;; [unrolled: 1-line block ×3, first 2 shown]
	v_add_f64 v[39:40], v[6:7], -v[11:12]
	v_add_f64 v[27:28], v[17:18], v[19:20]
	v_add_f64 v[31:32], v[17:18], -v[19:20]
	v_add_f64 v[29:30], v[4:5], v[21:22]
	v_add_f64 v[33:34], v[4:5], -v[21:22]
	v_add_f64 v[37:38], v[0:1], v[4:5]
	v_add_f64 v[41:42], v[15:16], -v[11:12]
	v_add_f64 v[43:44], v[11:12], -v[15:16]
	;; [unrolled: 1-line block ×6, first 2 shown]
	v_fma_f64 v[23:24], v[23:24], -0.5, v[2:3]
	v_fma_f64 v[2:3], v[25:26], -0.5, v[2:3]
	v_add_f64 v[25:26], v[9:10], -v[15:16]
	v_fma_f64 v[27:28], v[27:28], -0.5, v[0:1]
	v_fma_f64 v[0:1], v[29:30], -0.5, v[0:1]
	v_add_f64 v[29:30], v[9:10], -v[6:7]
	v_add_f64 v[6:7], v[6:7], -v[9:10]
	v_add_f64 v[9:10], v[35:36], v[9:10]
	v_add_f64 v[17:18], v[37:38], v[17:18]
	v_fma_f64 v[35:36], v[31:32], s[8:9], v[23:24]
	v_fma_f64 v[23:24], v[31:32], s[2:3], v[23:24]
	;; [unrolled: 1-line block ×7, first 2 shown]
	v_add_f64 v[29:30], v[29:30], v[41:42]
	v_add_f64 v[41:42], v[6:7], v[43:44]
	;; [unrolled: 1-line block ×6, first 2 shown]
	v_fma_f64 v[27:28], v[39:40], s[8:9], v[27:28]
	v_fma_f64 v[9:10], v[33:34], s[16:17], v[35:36]
	;; [unrolled: 1-line block ×8, first 2 shown]
	v_add_f64 v[2:3], v[4:5], v[11:12]
	v_add_f64 v[0:1], v[6:7], v[21:22]
	v_fma_f64 v[25:26], v[25:26], s[10:11], v[27:28]
	v_fma_f64 v[6:7], v[29:30], s[18:19], v[9:10]
	;; [unrolled: 1-line block ×6, first 2 shown]
	scratch_load_b32 v23, off, off offset:8 ; 4-byte Folded Reload
	s_waitcnt vmcnt(1)
	v_and_b32_e32 v13, 0xffff, v13
	v_fma_f64 v[9:10], v[43:44], s[18:19], v[31:32]
	v_fma_f64 v[4:5], v[43:44], s[18:19], v[33:34]
	s_delay_alu instid0(VALU_DEP_3) | instskip(SKIP_2) | instid1(VALU_DEP_2)
	v_mul_u32_u24_e32 v13, 0xaa, v13
	v_fma_f64 v[15:16], v[45:46], s[18:19], v[25:26]
	s_waitcnt vmcnt(0)
	v_add_nc_u32_e32 v13, v13, v23
	scratch_load_b32 v23, off, off          ; 4-byte Folded Reload
	s_waitcnt vmcnt(0)
	v_lshl_add_u32 v13, v13, 4, v23
	ds_store_b128 v13, v[0:3]
	ds_store_b128 v13, v[19:22] offset:544
	ds_store_b128 v13, v[9:12] offset:1088
	;; [unrolled: 1-line block ×4, first 2 shown]
.LBB0_21:
	s_or_b32 exec_lo, exec_lo, s1
	s_waitcnt lgkmcnt(0)
	s_barrier
	buffer_gl0_inv
	ds_load_b128 v[0:3], v255 offset:2720
	ds_load_b128 v[4:7], v255 offset:5440
	;; [unrolled: 1-line block ×8, first 2 shown]
	s_clause 0x3
	scratch_load_b128 v[88:91], off, off offset:248
	scratch_load_b128 v[83:86], off, off offset:232
	;; [unrolled: 1-line block ×4, first 2 shown]
	ds_load_b128 v[35:38], v255 offset:10880
	ds_load_b128 v[39:42], v255 offset:8160
	;; [unrolled: 1-line block ×4, first 2 shown]
	s_mov_b32 s0, 0x37e14327
	s_mov_b32 s2, 0x36b3c0b5
	;; [unrolled: 1-line block ×9, first 2 shown]
	s_waitcnt lgkmcnt(7)
	v_mul_f64 v[67:68], v[106:107], v[21:22]
	v_mul_f64 v[69:70], v[106:107], v[19:20]
	s_waitcnt lgkmcnt(6)
	v_mul_f64 v[71:72], v[102:103], v[25:26]
	v_mul_f64 v[73:74], v[102:103], v[23:24]
	;; [unrolled: 3-line block ×4, first 2 shown]
	s_mov_b32 s18, 0xb247c609
	s_mov_b32 s17, 0xbff2aaaa
	;; [unrolled: 1-line block ×5, first 2 shown]
	v_fma_f64 v[19:20], v[104:105], v[19:20], v[67:68]
	v_fma_f64 v[21:22], v[104:105], v[21:22], -v[69:70]
	v_fma_f64 v[23:24], v[100:101], v[23:24], v[71:72]
	v_fma_f64 v[25:26], v[100:101], v[25:26], -v[73:74]
	;; [unrolled: 2-line block ×4, first 2 shown]
	s_waitcnt vmcnt(3)
	v_mul_f64 v[51:52], v[90:91], v[2:3]
	v_mul_f64 v[53:54], v[90:91], v[0:1]
	s_waitcnt vmcnt(2)
	v_mul_f64 v[55:56], v[85:86], v[6:7]
	v_mul_f64 v[57:58], v[85:86], v[4:5]
	;; [unrolled: 3-line block ×4, first 2 shown]
	s_waitcnt lgkmcnt(2)
	v_mul_f64 v[86:87], v[126:127], v[41:42]
	v_mul_f64 v[90:91], v[126:127], v[39:40]
	;; [unrolled: 1-line block ×4, first 2 shown]
	v_fma_f64 v[0:1], v[88:89], v[0:1], v[51:52]
	v_fma_f64 v[2:3], v[88:89], v[2:3], -v[53:54]
	v_fma_f64 v[4:5], v[83:84], v[4:5], v[55:56]
	v_fma_f64 v[6:7], v[83:84], v[6:7], -v[57:58]
	;; [unrolled: 2-line block ×4, first 2 shown]
	s_waitcnt lgkmcnt(1)
	v_mul_f64 v[51:52], v[114:115], v[45:46]
	v_mul_f64 v[53:54], v[114:115], v[43:44]
	s_waitcnt lgkmcnt(0)
	v_mul_f64 v[55:56], v[110:111], v[49:50]
	v_mul_f64 v[57:58], v[110:111], v[47:48]
	v_fma_f64 v[39:40], v[124:125], v[39:40], v[86:87]
	v_fma_f64 v[41:42], v[124:125], v[41:42], -v[90:91]
	v_fma_f64 v[35:36], v[120:121], v[35:36], v[94:95]
	v_fma_f64 v[37:38], v[120:121], v[37:38], -v[98:99]
	v_add_f64 v[59:60], v[0:1], v[9:10]
	v_add_f64 v[61:62], v[2:3], v[11:12]
	;; [unrolled: 1-line block ×4, first 2 shown]
	v_fma_f64 v[43:44], v[112:113], v[43:44], v[51:52]
	v_fma_f64 v[45:46], v[112:113], v[45:46], -v[53:54]
	v_fma_f64 v[47:48], v[108:109], v[47:48], v[55:56]
	v_fma_f64 v[49:50], v[108:109], v[49:50], -v[57:58]
	v_add_f64 v[51:52], v[19:20], v[27:28]
	v_add_f64 v[53:54], v[21:22], v[29:30]
	;; [unrolled: 1-line block ×6, first 2 shown]
	v_add_f64 v[15:16], v[4:5], -v[15:16]
	v_add_f64 v[17:18], v[6:7], -v[17:18]
	;; [unrolled: 1-line block ×10, first 2 shown]
	ds_load_b128 v[0:3], v255
	ds_load_b128 v[4:7], v255 offset:1360
	v_add_f64 v[39:40], v[63:64], v[59:60]
	v_add_f64 v[41:42], v[65:66], v[61:62]
	;; [unrolled: 1-line block ×4, first 2 shown]
	v_add_f64 v[43:44], v[47:48], -v[43:44]
	v_add_f64 v[45:46], v[49:50], -v[45:46]
	v_add_f64 v[27:28], v[55:56], v[51:52]
	v_add_f64 v[29:30], v[57:58], v[53:54]
	v_add_f64 v[47:48], v[59:60], -v[67:68]
	v_add_f64 v[49:50], v[61:62], -v[69:70]
	;; [unrolled: 1-line block ×12, first 2 shown]
	v_add_f64 v[15:16], v[35:36], v[15:16]
	v_add_f64 v[17:18], v[37:38], v[17:18]
	v_add_f64 v[35:36], v[9:10], -v[35:36]
	v_add_f64 v[37:38], v[11:12], -v[37:38]
	v_add_f64 v[39:40], v[67:68], v[39:40]
	v_add_f64 v[41:42], v[69:70], v[41:42]
	v_add_f64 v[67:68], v[51:52], -v[31:32]
	v_add_f64 v[69:70], v[53:54], -v[33:34]
	;; [unrolled: 1-line block ×4, first 2 shown]
	v_add_f64 v[27:28], v[31:32], v[27:28]
	v_add_f64 v[29:30], v[33:34], v[29:30]
	v_add_f64 v[31:32], v[31:32], -v[55:56]
	v_add_f64 v[33:34], v[33:34], -v[57:58]
	v_add_f64 v[23:24], v[43:44], v[23:24]
	v_add_f64 v[25:26], v[45:46], v[25:26]
	v_mul_f64 v[47:48], v[47:48], s[0:1]
	v_mul_f64 v[49:50], v[49:50], s[0:1]
	;; [unrolled: 1-line block ×8, first 2 shown]
	v_add_f64 v[43:44], v[19:20], -v[43:44]
	v_add_f64 v[45:46], v[21:22], -v[45:46]
	v_mul_f64 v[95:96], v[87:88], s[10:11]
	v_mul_f64 v[97:98], v[89:90], s[10:11]
	v_add_f64 v[51:52], v[55:56], -v[51:52]
	v_add_f64 v[53:54], v[57:58], -v[53:54]
	v_add_f64 v[9:10], v[15:16], v[9:10]
	v_add_f64 v[11:12], v[17:18], v[11:12]
	s_waitcnt lgkmcnt(1)
	v_add_f64 v[0:1], v[0:1], v[39:40]
	v_add_f64 v[2:3], v[2:3], v[41:42]
	v_mul_f64 v[67:68], v[67:68], s[0:1]
	v_mul_f64 v[69:70], v[69:70], s[0:1]
	;; [unrolled: 1-line block ×4, first 2 shown]
	s_waitcnt lgkmcnt(0)
	v_add_f64 v[4:5], v[4:5], v[27:28]
	v_add_f64 v[6:7], v[6:7], v[29:30]
	v_mul_f64 v[55:56], v[31:32], s[2:3]
	v_mul_f64 v[57:58], v[33:34], s[2:3]
	s_mov_b32 s0, 0x5476071b
	s_mov_b32 s1, 0x3fe77f67
	;; [unrolled: 1-line block ×4, first 2 shown]
	v_add_f64 v[15:16], v[23:24], v[19:20]
	v_add_f64 v[17:18], v[25:26], v[21:22]
	v_fma_f64 v[19:20], v[71:72], s[2:3], v[47:48]
	v_fma_f64 v[21:22], v[73:74], s[2:3], v[49:50]
	v_fma_f64 v[23:24], v[59:60], s[0:1], -v[63:64]
	v_fma_f64 v[25:26], v[61:62], s[0:1], -v[65:66]
	v_fma_f64 v[63:64], v[35:36], s[18:19], v[75:76]
	v_fma_f64 v[65:66], v[37:38], s[18:19], v[77:78]
	v_fma_f64 v[71:72], v[79:80], s[10:11], -v[75:76]
	v_fma_f64 v[73:74], v[81:82], s[10:11], -v[77:78]
	;; [unrolled: 1-line block ×6, first 2 shown]
	v_fma_f64 v[39:40], v[39:40], s[16:17], v[0:1]
	v_fma_f64 v[41:42], v[41:42], s[16:17], v[2:3]
	;; [unrolled: 1-line block ×8, first 2 shown]
	v_fma_f64 v[43:44], v[43:44], s[20:21], -v[95:96]
	v_fma_f64 v[45:46], v[45:46], s[20:21], -v[97:98]
	;; [unrolled: 1-line block ×8, first 2 shown]
	s_mov_b32 s0, 0x37c3f68c
	s_mov_b32 s1, 0xbfdc38aa
	s_delay_alu instid0(SALU_CYCLE_1)
	v_fma_f64 v[55:56], v[9:10], s[0:1], v[63:64]
	v_fma_f64 v[57:58], v[11:12], s[0:1], v[65:66]
	;; [unrolled: 1-line block ×6, first 2 shown]
	v_add_f64 v[71:72], v[19:20], v[39:40]
	v_add_f64 v[73:74], v[21:22], v[41:42]
	;; [unrolled: 1-line block ×6, first 2 shown]
	v_fma_f64 v[59:60], v[15:16], s[0:1], v[59:60]
	v_fma_f64 v[61:62], v[17:18], s[0:1], v[61:62]
	v_add_f64 v[83:84], v[31:32], v[27:28]
	v_add_f64 v[85:86], v[33:34], v[29:30]
	v_fma_f64 v[79:80], v[15:16], s[0:1], v[43:44]
	v_fma_f64 v[81:82], v[17:18], s[0:1], v[45:46]
	v_add_f64 v[67:68], v[67:68], v[27:28]
	v_add_f64 v[69:70], v[69:70], v[29:30]
	;; [unrolled: 4-line block ×3, first 2 shown]
	v_add_f64 v[9:10], v[57:58], v[71:72]
	v_add_f64 v[11:12], v[73:74], -v[55:56]
	v_add_f64 v[15:16], v[37:38], v[47:48]
	v_add_f64 v[17:18], v[49:50], -v[35:36]
	v_add_f64 v[19:20], v[23:24], -v[65:66]
	v_add_f64 v[21:22], v[63:64], v[25:26]
	v_add_f64 v[23:24], v[65:66], v[23:24]
	v_add_f64 v[25:26], v[25:26], -v[63:64]
	v_add_f64 v[27:28], v[47:48], -v[37:38]
	v_add_f64 v[29:30], v[35:36], v[49:50]
	v_add_f64 v[31:32], v[71:72], -v[57:58]
	v_add_f64 v[33:34], v[55:56], v[73:74]
	v_add_f64 v[35:36], v[61:62], v[83:84]
	v_add_f64 v[37:38], v[85:86], -v[59:60]
	v_add_f64 v[39:40], v[81:82], v[67:68]
	v_add_f64 v[41:42], v[69:70], -v[79:80]
	v_add_f64 v[43:44], v[51:52], -v[77:78]
	v_add_f64 v[45:46], v[75:76], v[53:54]
	v_add_f64 v[47:48], v[77:78], v[51:52]
	v_add_f64 v[49:50], v[53:54], -v[75:76]
	v_add_f64 v[51:52], v[67:68], -v[81:82]
	v_add_f64 v[53:54], v[79:80], v[69:70]
	v_add_f64 v[55:56], v[83:84], -v[61:62]
	v_add_f64 v[57:58], v[59:60], v[85:86]
	ds_store_b128 v14, v[0:3]
	ds_store_b128 v14, v[4:7] offset:1360
	ds_store_b128 v14, v[9:12] offset:2720
	;; [unrolled: 1-line block ×13, first 2 shown]
	s_waitcnt lgkmcnt(0)
	s_barrier
	buffer_gl0_inv
	s_and_b32 exec_lo, exec_lo, vcc_lo
	s_cbranch_execz .LBB0_23
; %bb.22:
	global_load_b128 v[0:3], v244, s[12:13]
	ds_load_b128 v[4:7], v14
	ds_load_b128 v[8:11], v14 offset:1120
	s_mov_b32 s0, 0x1b89401c
	s_mov_b32 s1, 0x3f4b8940
	s_mul_i32 s2, s5, 0x460
	s_mul_i32 s3, s4, 0x460
	s_waitcnt vmcnt(0) lgkmcnt(1)
	v_mul_f64 v[12:13], v[6:7], v[2:3]
	v_mul_f64 v[2:3], v[4:5], v[2:3]
	s_delay_alu instid0(VALU_DEP_2) | instskip(NEXT) | instid1(VALU_DEP_2)
	v_fma_f64 v[4:5], v[4:5], v[0:1], v[12:13]
	v_fma_f64 v[2:3], v[0:1], v[6:7], -v[2:3]
	v_mad_u64_u32 v[6:7], null, s6, v196, 0
	v_mad_u64_u32 v[12:13], null, s4, v245, 0
	s_delay_alu instid0(VALU_DEP_4) | instskip(NEXT) | instid1(VALU_DEP_4)
	v_mul_f64 v[0:1], v[4:5], s[0:1]
	v_mul_f64 v[2:3], v[2:3], s[0:1]
	s_delay_alu instid0(VALU_DEP_3) | instskip(NEXT) | instid1(VALU_DEP_1)
	v_dual_mov_b32 v4, v7 :: v_dual_mov_b32 v5, v13
	v_mad_u64_u32 v[15:16], null, s7, v196, v[4:5]
	v_mad_u64_u32 v[16:17], null, s5, v245, v[5:6]
	s_mul_hi_u32 s5, s4, 0x460
	v_add_co_u32 v19, s4, s12, v244
	s_add_i32 s2, s5, s2
	s_delay_alu instid0(VALU_DEP_3) | instskip(SKIP_1) | instid1(VALU_DEP_4)
	v_mov_b32_e32 v7, v15
	v_add_co_ci_u32_e64 v20, null, s13, 0, s4
	v_mov_b32_e32 v13, v16
	s_delay_alu instid0(VALU_DEP_3) | instskip(NEXT) | instid1(VALU_DEP_2)
	v_lshlrev_b64 v[4:5], 4, v[6:7]
	v_lshlrev_b64 v[6:7], 4, v[12:13]
	s_delay_alu instid0(VALU_DEP_2) | instskip(NEXT) | instid1(VALU_DEP_3)
	v_add_co_u32 v4, vcc_lo, s14, v4
	v_add_co_ci_u32_e32 v5, vcc_lo, s15, v5, vcc_lo
	s_delay_alu instid0(VALU_DEP_2) | instskip(NEXT) | instid1(VALU_DEP_2)
	v_add_co_u32 v4, vcc_lo, v4, v6
	v_add_co_ci_u32_e32 v5, vcc_lo, v5, v7, vcc_lo
	s_delay_alu instid0(VALU_DEP_2)
	v_add_co_u32 v12, vcc_lo, v4, s3
	global_store_b128 v[4:5], v[0:3], off
	global_load_b128 v[0:3], v244, s[12:13] offset:1120
	v_add_co_ci_u32_e32 v13, vcc_lo, s2, v5, vcc_lo
	s_waitcnt vmcnt(0) lgkmcnt(0)
	v_mul_f64 v[6:7], v[10:11], v[2:3]
	v_mul_f64 v[2:3], v[8:9], v[2:3]
	s_delay_alu instid0(VALU_DEP_2) | instskip(NEXT) | instid1(VALU_DEP_2)
	v_fma_f64 v[6:7], v[8:9], v[0:1], v[6:7]
	v_fma_f64 v[2:3], v[0:1], v[10:11], -v[2:3]
	s_delay_alu instid0(VALU_DEP_2) | instskip(NEXT) | instid1(VALU_DEP_2)
	v_mul_f64 v[0:1], v[6:7], s[0:1]
	v_mul_f64 v[2:3], v[2:3], s[0:1]
	global_store_b128 v[12:13], v[0:3], off
	global_load_b128 v[0:3], v244, s[12:13] offset:2240
	ds_load_b128 v[4:7], v14 offset:2240
	ds_load_b128 v[8:11], v14 offset:3360
	s_waitcnt vmcnt(0) lgkmcnt(1)
	v_mul_f64 v[15:16], v[6:7], v[2:3]
	v_mul_f64 v[2:3], v[4:5], v[2:3]
	s_delay_alu instid0(VALU_DEP_2) | instskip(NEXT) | instid1(VALU_DEP_2)
	v_fma_f64 v[4:5], v[4:5], v[0:1], v[15:16]
	v_fma_f64 v[2:3], v[0:1], v[6:7], -v[2:3]
	s_delay_alu instid0(VALU_DEP_2) | instskip(NEXT) | instid1(VALU_DEP_2)
	v_mul_f64 v[0:1], v[4:5], s[0:1]
	v_mul_f64 v[2:3], v[2:3], s[0:1]
	v_add_co_u32 v4, vcc_lo, v12, s3
	v_add_co_ci_u32_e32 v5, vcc_lo, s2, v13, vcc_lo
	s_delay_alu instid0(VALU_DEP_2) | instskip(NEXT) | instid1(VALU_DEP_2)
	v_add_co_u32 v12, vcc_lo, v4, s3
	v_add_co_ci_u32_e32 v13, vcc_lo, s2, v5, vcc_lo
	v_add_co_u32 v15, vcc_lo, 0x1000, v19
	v_add_co_ci_u32_e32 v16, vcc_lo, 0, v20, vcc_lo
	global_store_b128 v[4:5], v[0:3], off
	global_load_b128 v[0:3], v244, s[12:13] offset:3360
	s_waitcnt vmcnt(0) lgkmcnt(0)
	v_mul_f64 v[6:7], v[10:11], v[2:3]
	v_mul_f64 v[2:3], v[8:9], v[2:3]
	s_delay_alu instid0(VALU_DEP_2) | instskip(NEXT) | instid1(VALU_DEP_2)
	v_fma_f64 v[6:7], v[8:9], v[0:1], v[6:7]
	v_fma_f64 v[2:3], v[0:1], v[10:11], -v[2:3]
	s_delay_alu instid0(VALU_DEP_2) | instskip(NEXT) | instid1(VALU_DEP_2)
	v_mul_f64 v[0:1], v[6:7], s[0:1]
	v_mul_f64 v[2:3], v[2:3], s[0:1]
	global_store_b128 v[12:13], v[0:3], off
	global_load_b128 v[0:3], v[15:16], off offset:384
	ds_load_b128 v[4:7], v14 offset:4480
	ds_load_b128 v[8:11], v14 offset:5600
	s_waitcnt vmcnt(0) lgkmcnt(1)
	v_mul_f64 v[17:18], v[6:7], v[2:3]
	v_mul_f64 v[2:3], v[4:5], v[2:3]
	s_delay_alu instid0(VALU_DEP_2) | instskip(NEXT) | instid1(VALU_DEP_2)
	v_fma_f64 v[4:5], v[4:5], v[0:1], v[17:18]
	v_fma_f64 v[2:3], v[0:1], v[6:7], -v[2:3]
	s_delay_alu instid0(VALU_DEP_2) | instskip(NEXT) | instid1(VALU_DEP_2)
	v_mul_f64 v[0:1], v[4:5], s[0:1]
	v_mul_f64 v[2:3], v[2:3], s[0:1]
	v_add_co_u32 v4, vcc_lo, v12, s3
	v_add_co_ci_u32_e32 v5, vcc_lo, s2, v13, vcc_lo
	s_delay_alu instid0(VALU_DEP_2) | instskip(NEXT) | instid1(VALU_DEP_2)
	v_add_co_u32 v12, vcc_lo, v4, s3
	v_add_co_ci_u32_e32 v13, vcc_lo, s2, v5, vcc_lo
	global_store_b128 v[4:5], v[0:3], off
	global_load_b128 v[0:3], v[15:16], off offset:1504
	s_waitcnt vmcnt(0) lgkmcnt(0)
	v_mul_f64 v[6:7], v[10:11], v[2:3]
	v_mul_f64 v[2:3], v[8:9], v[2:3]
	s_delay_alu instid0(VALU_DEP_2) | instskip(NEXT) | instid1(VALU_DEP_2)
	v_fma_f64 v[6:7], v[8:9], v[0:1], v[6:7]
	v_fma_f64 v[2:3], v[0:1], v[10:11], -v[2:3]
	s_delay_alu instid0(VALU_DEP_2) | instskip(NEXT) | instid1(VALU_DEP_2)
	v_mul_f64 v[0:1], v[6:7], s[0:1]
	v_mul_f64 v[2:3], v[2:3], s[0:1]
	global_store_b128 v[12:13], v[0:3], off
	global_load_b128 v[0:3], v[15:16], off offset:2624
	ds_load_b128 v[4:7], v14 offset:6720
	ds_load_b128 v[8:11], v14 offset:7840
	s_waitcnt vmcnt(0) lgkmcnt(1)
	v_mul_f64 v[17:18], v[6:7], v[2:3]
	v_mul_f64 v[2:3], v[4:5], v[2:3]
	s_delay_alu instid0(VALU_DEP_2) | instskip(NEXT) | instid1(VALU_DEP_2)
	v_fma_f64 v[4:5], v[4:5], v[0:1], v[17:18]
	v_fma_f64 v[2:3], v[0:1], v[6:7], -v[2:3]
	s_delay_alu instid0(VALU_DEP_2) | instskip(NEXT) | instid1(VALU_DEP_2)
	v_mul_f64 v[0:1], v[4:5], s[0:1]
	v_mul_f64 v[2:3], v[2:3], s[0:1]
	v_add_co_u32 v4, vcc_lo, v12, s3
	v_add_co_ci_u32_e32 v5, vcc_lo, s2, v13, vcc_lo
	s_delay_alu instid0(VALU_DEP_2) | instskip(NEXT) | instid1(VALU_DEP_2)
	v_add_co_u32 v12, vcc_lo, v4, s3
	v_add_co_ci_u32_e32 v13, vcc_lo, s2, v5, vcc_lo
	global_store_b128 v[4:5], v[0:3], off
	global_load_b128 v[0:3], v[15:16], off offset:3744
	v_add_co_u32 v15, vcc_lo, 0x2000, v19
	v_add_co_ci_u32_e32 v16, vcc_lo, 0, v20, vcc_lo
	s_waitcnt vmcnt(0) lgkmcnt(0)
	v_mul_f64 v[6:7], v[10:11], v[2:3]
	v_mul_f64 v[2:3], v[8:9], v[2:3]
	s_delay_alu instid0(VALU_DEP_2) | instskip(NEXT) | instid1(VALU_DEP_2)
	v_fma_f64 v[6:7], v[8:9], v[0:1], v[6:7]
	v_fma_f64 v[2:3], v[0:1], v[10:11], -v[2:3]
	s_delay_alu instid0(VALU_DEP_2) | instskip(NEXT) | instid1(VALU_DEP_2)
	v_mul_f64 v[0:1], v[6:7], s[0:1]
	v_mul_f64 v[2:3], v[2:3], s[0:1]
	global_store_b128 v[12:13], v[0:3], off
	global_load_b128 v[0:3], v[15:16], off offset:768
	ds_load_b128 v[4:7], v14 offset:8960
	ds_load_b128 v[8:11], v14 offset:10080
	s_waitcnt vmcnt(0) lgkmcnt(1)
	v_mul_f64 v[17:18], v[6:7], v[2:3]
	v_mul_f64 v[2:3], v[4:5], v[2:3]
	s_delay_alu instid0(VALU_DEP_2) | instskip(NEXT) | instid1(VALU_DEP_2)
	v_fma_f64 v[4:5], v[4:5], v[0:1], v[17:18]
	v_fma_f64 v[2:3], v[0:1], v[6:7], -v[2:3]
	s_delay_alu instid0(VALU_DEP_2) | instskip(NEXT) | instid1(VALU_DEP_2)
	v_mul_f64 v[0:1], v[4:5], s[0:1]
	v_mul_f64 v[2:3], v[2:3], s[0:1]
	v_add_co_u32 v4, vcc_lo, v12, s3
	v_add_co_ci_u32_e32 v5, vcc_lo, s2, v13, vcc_lo
	s_delay_alu instid0(VALU_DEP_2) | instskip(NEXT) | instid1(VALU_DEP_2)
	v_add_co_u32 v12, vcc_lo, v4, s3
	v_add_co_ci_u32_e32 v13, vcc_lo, s2, v5, vcc_lo
	global_store_b128 v[4:5], v[0:3], off
	global_load_b128 v[0:3], v[15:16], off offset:1888
	s_waitcnt vmcnt(0) lgkmcnt(0)
	v_mul_f64 v[6:7], v[10:11], v[2:3]
	v_mul_f64 v[2:3], v[8:9], v[2:3]
	s_delay_alu instid0(VALU_DEP_2) | instskip(NEXT) | instid1(VALU_DEP_2)
	v_fma_f64 v[6:7], v[8:9], v[0:1], v[6:7]
	v_fma_f64 v[2:3], v[0:1], v[10:11], -v[2:3]
	s_delay_alu instid0(VALU_DEP_2) | instskip(NEXT) | instid1(VALU_DEP_2)
	v_mul_f64 v[0:1], v[6:7], s[0:1]
	v_mul_f64 v[2:3], v[2:3], s[0:1]
	global_store_b128 v[12:13], v[0:3], off
	global_load_b128 v[0:3], v[15:16], off offset:3008
	ds_load_b128 v[4:7], v14 offset:11200
	ds_load_b128 v[8:11], v14 offset:12320
	s_waitcnt vmcnt(0) lgkmcnt(1)
	v_mul_f64 v[15:16], v[6:7], v[2:3]
	v_mul_f64 v[2:3], v[4:5], v[2:3]
	s_delay_alu instid0(VALU_DEP_2) | instskip(NEXT) | instid1(VALU_DEP_2)
	v_fma_f64 v[4:5], v[4:5], v[0:1], v[15:16]
	v_fma_f64 v[2:3], v[0:1], v[6:7], -v[2:3]
	s_delay_alu instid0(VALU_DEP_2) | instskip(NEXT) | instid1(VALU_DEP_2)
	v_mul_f64 v[0:1], v[4:5], s[0:1]
	v_mul_f64 v[2:3], v[2:3], s[0:1]
	v_add_co_u32 v4, vcc_lo, v12, s3
	v_add_co_ci_u32_e32 v5, vcc_lo, s2, v13, vcc_lo
	v_add_co_u32 v12, vcc_lo, 0x3000, v19
	v_add_co_ci_u32_e32 v13, vcc_lo, 0, v20, vcc_lo
	s_delay_alu instid0(VALU_DEP_4) | instskip(NEXT) | instid1(VALU_DEP_4)
	v_add_co_u32 v15, vcc_lo, v4, s3
	v_add_co_ci_u32_e32 v16, vcc_lo, s2, v5, vcc_lo
	global_store_b128 v[4:5], v[0:3], off
	global_load_b128 v[0:3], v[12:13], off offset:32
	s_waitcnt vmcnt(0) lgkmcnt(0)
	v_mul_f64 v[6:7], v[10:11], v[2:3]
	v_mul_f64 v[2:3], v[8:9], v[2:3]
	s_delay_alu instid0(VALU_DEP_2) | instskip(NEXT) | instid1(VALU_DEP_2)
	v_fma_f64 v[6:7], v[8:9], v[0:1], v[6:7]
	v_fma_f64 v[2:3], v[0:1], v[10:11], -v[2:3]
	s_delay_alu instid0(VALU_DEP_2) | instskip(NEXT) | instid1(VALU_DEP_2)
	v_mul_f64 v[0:1], v[6:7], s[0:1]
	v_mul_f64 v[2:3], v[2:3], s[0:1]
	global_store_b128 v[15:16], v[0:3], off
	global_load_b128 v[0:3], v[12:13], off offset:1152
	ds_load_b128 v[4:7], v14 offset:13440
	ds_load_b128 v[8:11], v14 offset:14560
	s_waitcnt vmcnt(0) lgkmcnt(1)
	v_mul_f64 v[17:18], v[6:7], v[2:3]
	v_mul_f64 v[2:3], v[4:5], v[2:3]
	s_delay_alu instid0(VALU_DEP_2) | instskip(NEXT) | instid1(VALU_DEP_2)
	v_fma_f64 v[4:5], v[4:5], v[0:1], v[17:18]
	v_fma_f64 v[2:3], v[0:1], v[6:7], -v[2:3]
	s_delay_alu instid0(VALU_DEP_2) | instskip(NEXT) | instid1(VALU_DEP_2)
	v_mul_f64 v[0:1], v[4:5], s[0:1]
	v_mul_f64 v[2:3], v[2:3], s[0:1]
	v_add_co_u32 v4, vcc_lo, v15, s3
	v_add_co_ci_u32_e32 v5, vcc_lo, s2, v16, vcc_lo
	s_delay_alu instid0(VALU_DEP_2) | instskip(NEXT) | instid1(VALU_DEP_2)
	v_add_co_u32 v15, vcc_lo, v4, s3
	v_add_co_ci_u32_e32 v16, vcc_lo, s2, v5, vcc_lo
	global_store_b128 v[4:5], v[0:3], off
	global_load_b128 v[0:3], v[12:13], off offset:2272
	s_waitcnt vmcnt(0) lgkmcnt(0)
	v_mul_f64 v[6:7], v[10:11], v[2:3]
	v_mul_f64 v[2:3], v[8:9], v[2:3]
	s_delay_alu instid0(VALU_DEP_2) | instskip(NEXT) | instid1(VALU_DEP_2)
	v_fma_f64 v[6:7], v[8:9], v[0:1], v[6:7]
	v_fma_f64 v[2:3], v[0:1], v[10:11], -v[2:3]
	s_delay_alu instid0(VALU_DEP_2) | instskip(NEXT) | instid1(VALU_DEP_2)
	v_mul_f64 v[0:1], v[6:7], s[0:1]
	v_mul_f64 v[2:3], v[2:3], s[0:1]
	global_store_b128 v[15:16], v[0:3], off
	global_load_b128 v[0:3], v[12:13], off offset:3392
	ds_load_b128 v[4:7], v14 offset:15680
	ds_load_b128 v[8:11], v14 offset:16800
	s_waitcnt vmcnt(0) lgkmcnt(1)
	v_mul_f64 v[12:13], v[6:7], v[2:3]
	v_mul_f64 v[2:3], v[4:5], v[2:3]
	s_delay_alu instid0(VALU_DEP_2) | instskip(NEXT) | instid1(VALU_DEP_2)
	v_fma_f64 v[4:5], v[4:5], v[0:1], v[12:13]
	v_fma_f64 v[2:3], v[0:1], v[6:7], -v[2:3]
	s_delay_alu instid0(VALU_DEP_2) | instskip(NEXT) | instid1(VALU_DEP_2)
	v_mul_f64 v[0:1], v[4:5], s[0:1]
	v_mul_f64 v[2:3], v[2:3], s[0:1]
	v_add_co_u32 v4, vcc_lo, v15, s3
	v_add_co_ci_u32_e32 v5, vcc_lo, s2, v16, vcc_lo
	v_add_co_u32 v6, vcc_lo, 0x4000, v19
	v_add_co_ci_u32_e32 v7, vcc_lo, 0, v20, vcc_lo
	global_store_b128 v[4:5], v[0:3], off
	global_load_b128 v[0:3], v[6:7], off offset:416
	s_waitcnt vmcnt(0) lgkmcnt(0)
	v_mul_f64 v[12:13], v[10:11], v[2:3]
	v_mul_f64 v[2:3], v[8:9], v[2:3]
	s_delay_alu instid0(VALU_DEP_2) | instskip(NEXT) | instid1(VALU_DEP_2)
	v_fma_f64 v[8:9], v[8:9], v[0:1], v[12:13]
	v_fma_f64 v[2:3], v[0:1], v[10:11], -v[2:3]
	s_delay_alu instid0(VALU_DEP_2) | instskip(NEXT) | instid1(VALU_DEP_2)
	v_mul_f64 v[0:1], v[8:9], s[0:1]
	v_mul_f64 v[2:3], v[2:3], s[0:1]
	v_add_co_u32 v8, vcc_lo, v4, s3
	v_add_co_ci_u32_e32 v9, vcc_lo, s2, v5, vcc_lo
	global_store_b128 v[8:9], v[0:3], off
	global_load_b128 v[0:3], v[6:7], off offset:1536
	ds_load_b128 v[4:7], v14 offset:17920
	s_waitcnt vmcnt(0) lgkmcnt(0)
	v_mul_f64 v[10:11], v[6:7], v[2:3]
	v_mul_f64 v[2:3], v[4:5], v[2:3]
	s_delay_alu instid0(VALU_DEP_2) | instskip(NEXT) | instid1(VALU_DEP_2)
	v_fma_f64 v[4:5], v[4:5], v[0:1], v[10:11]
	v_fma_f64 v[2:3], v[0:1], v[6:7], -v[2:3]
	s_delay_alu instid0(VALU_DEP_2) | instskip(NEXT) | instid1(VALU_DEP_2)
	v_mul_f64 v[0:1], v[4:5], s[0:1]
	v_mul_f64 v[2:3], v[2:3], s[0:1]
	v_add_co_u32 v4, vcc_lo, v8, s3
	v_add_co_ci_u32_e32 v5, vcc_lo, s2, v9, vcc_lo
	global_store_b128 v[4:5], v[0:3], off
.LBB0_23:
	s_nop 0
	s_sendmsg sendmsg(MSG_DEALLOC_VGPRS)
	s_endpgm
	.section	.rodata,"a",@progbits
	.p2align	6, 0x0
	.amdhsa_kernel bluestein_single_back_len1190_dim1_dp_op_CI_CI
		.amdhsa_group_segment_fixed_size 57120
		.amdhsa_private_segment_fixed_size 440
		.amdhsa_kernarg_size 104
		.amdhsa_user_sgpr_count 15
		.amdhsa_user_sgpr_dispatch_ptr 0
		.amdhsa_user_sgpr_queue_ptr 0
		.amdhsa_user_sgpr_kernarg_segment_ptr 1
		.amdhsa_user_sgpr_dispatch_id 0
		.amdhsa_user_sgpr_private_segment_size 0
		.amdhsa_wavefront_size32 1
		.amdhsa_uses_dynamic_stack 0
		.amdhsa_enable_private_segment 1
		.amdhsa_system_sgpr_workgroup_id_x 1
		.amdhsa_system_sgpr_workgroup_id_y 0
		.amdhsa_system_sgpr_workgroup_id_z 0
		.amdhsa_system_sgpr_workgroup_info 0
		.amdhsa_system_vgpr_workitem_id 0
		.amdhsa_next_free_vgpr 256
		.amdhsa_next_free_sgpr 58
		.amdhsa_reserve_vcc 1
		.amdhsa_float_round_mode_32 0
		.amdhsa_float_round_mode_16_64 0
		.amdhsa_float_denorm_mode_32 3
		.amdhsa_float_denorm_mode_16_64 3
		.amdhsa_dx10_clamp 1
		.amdhsa_ieee_mode 1
		.amdhsa_fp16_overflow 0
		.amdhsa_workgroup_processor_mode 1
		.amdhsa_memory_ordered 1
		.amdhsa_forward_progress 0
		.amdhsa_shared_vgpr_count 0
		.amdhsa_exception_fp_ieee_invalid_op 0
		.amdhsa_exception_fp_denorm_src 0
		.amdhsa_exception_fp_ieee_div_zero 0
		.amdhsa_exception_fp_ieee_overflow 0
		.amdhsa_exception_fp_ieee_underflow 0
		.amdhsa_exception_fp_ieee_inexact 0
		.amdhsa_exception_int_div_zero 0
	.end_amdhsa_kernel
	.text
.Lfunc_end0:
	.size	bluestein_single_back_len1190_dim1_dp_op_CI_CI, .Lfunc_end0-bluestein_single_back_len1190_dim1_dp_op_CI_CI
                                        ; -- End function
	.section	.AMDGPU.csdata,"",@progbits
; Kernel info:
; codeLenInByte = 31328
; NumSgprs: 60
; NumVgprs: 256
; ScratchSize: 440
; MemoryBound: 0
; FloatMode: 240
; IeeeMode: 1
; LDSByteSize: 57120 bytes/workgroup (compile time only)
; SGPRBlocks: 7
; VGPRBlocks: 31
; NumSGPRsForWavesPerEU: 60
; NumVGPRsForWavesPerEU: 256
; Occupancy: 4
; WaveLimiterHint : 1
; COMPUTE_PGM_RSRC2:SCRATCH_EN: 1
; COMPUTE_PGM_RSRC2:USER_SGPR: 15
; COMPUTE_PGM_RSRC2:TRAP_HANDLER: 0
; COMPUTE_PGM_RSRC2:TGID_X_EN: 1
; COMPUTE_PGM_RSRC2:TGID_Y_EN: 0
; COMPUTE_PGM_RSRC2:TGID_Z_EN: 0
; COMPUTE_PGM_RSRC2:TIDIG_COMP_CNT: 0
	.text
	.p2alignl 7, 3214868480
	.fill 96, 4, 3214868480
	.type	__hip_cuid_7116bc1832fc7547,@object ; @__hip_cuid_7116bc1832fc7547
	.section	.bss,"aw",@nobits
	.globl	__hip_cuid_7116bc1832fc7547
__hip_cuid_7116bc1832fc7547:
	.byte	0                               ; 0x0
	.size	__hip_cuid_7116bc1832fc7547, 1

	.ident	"AMD clang version 19.0.0git (https://github.com/RadeonOpenCompute/llvm-project roc-6.4.0 25133 c7fe45cf4b819c5991fe208aaa96edf142730f1d)"
	.section	".note.GNU-stack","",@progbits
	.addrsig
	.addrsig_sym __hip_cuid_7116bc1832fc7547
	.amdgpu_metadata
---
amdhsa.kernels:
  - .args:
      - .actual_access:  read_only
        .address_space:  global
        .offset:         0
        .size:           8
        .value_kind:     global_buffer
      - .actual_access:  read_only
        .address_space:  global
        .offset:         8
        .size:           8
        .value_kind:     global_buffer
      - .actual_access:  read_only
        .address_space:  global
        .offset:         16
        .size:           8
        .value_kind:     global_buffer
      - .actual_access:  read_only
        .address_space:  global
        .offset:         24
        .size:           8
        .value_kind:     global_buffer
      - .actual_access:  read_only
        .address_space:  global
        .offset:         32
        .size:           8
        .value_kind:     global_buffer
      - .offset:         40
        .size:           8
        .value_kind:     by_value
      - .address_space:  global
        .offset:         48
        .size:           8
        .value_kind:     global_buffer
      - .address_space:  global
        .offset:         56
        .size:           8
        .value_kind:     global_buffer
      - .address_space:  global
        .offset:         64
        .size:           8
        .value_kind:     global_buffer
      - .address_space:  global
        .offset:         72
        .size:           8
        .value_kind:     global_buffer
      - .offset:         80
        .size:           4
        .value_kind:     by_value
      - .address_space:  global
        .offset:         88
        .size:           8
        .value_kind:     global_buffer
      - .address_space:  global
        .offset:         96
        .size:           8
        .value_kind:     global_buffer
    .group_segment_fixed_size: 57120
    .kernarg_segment_align: 8
    .kernarg_segment_size: 104
    .language:       OpenCL C
    .language_version:
      - 2
      - 0
    .max_flat_workgroup_size: 255
    .name:           bluestein_single_back_len1190_dim1_dp_op_CI_CI
    .private_segment_fixed_size: 440
    .sgpr_count:     60
    .sgpr_spill_count: 0
    .symbol:         bluestein_single_back_len1190_dim1_dp_op_CI_CI.kd
    .uniform_work_group_size: 1
    .uses_dynamic_stack: false
    .vgpr_count:     256
    .vgpr_spill_count: 109
    .wavefront_size: 32
    .workgroup_processor_mode: 1
amdhsa.target:   amdgcn-amd-amdhsa--gfx1100
amdhsa.version:
  - 1
  - 2
...

	.end_amdgpu_metadata
